;; amdgpu-corpus repo=ROCm/rocFFT kind=compiled arch=gfx906 opt=O3
	.text
	.amdgcn_target "amdgcn-amd-amdhsa--gfx906"
	.amdhsa_code_object_version 6
	.protected	bluestein_single_back_len1547_dim1_half_op_CI_CI ; -- Begin function bluestein_single_back_len1547_dim1_half_op_CI_CI
	.globl	bluestein_single_back_len1547_dim1_half_op_CI_CI
	.p2align	8
	.type	bluestein_single_back_len1547_dim1_half_op_CI_CI,@function
bluestein_single_back_len1547_dim1_half_op_CI_CI: ; @bluestein_single_back_len1547_dim1_half_op_CI_CI
; %bb.0:
	s_load_dwordx4 s[0:3], s[4:5], 0x28
	v_mul_u32_u24_e32 v1, 0x227, v0
	v_add_u32_sdwa v20, s6, v1 dst_sel:DWORD dst_unused:UNUSED_PAD src0_sel:DWORD src1_sel:WORD_1
	v_mov_b32_e32 v21, 0
	s_waitcnt lgkmcnt(0)
	v_cmp_gt_u64_e32 vcc, s[0:1], v[20:21]
	s_and_saveexec_b64 s[0:1], vcc
	s_cbranch_execz .LBB0_23
; %bb.1:
	s_load_dwordx2 s[6:7], s[4:5], 0x0
	s_load_dwordx2 s[12:13], s[4:5], 0x38
	s_movk_i32 s0, 0x77
	v_mul_lo_u16_sdwa v1, v1, s0 dst_sel:DWORD dst_unused:UNUSED_PAD src0_sel:WORD_1 src1_sel:DWORD
	v_sub_u16_e32 v48, v0, v1
	s_movk_i32 s0, 0x5b
	v_cmp_gt_u16_e64 s[0:1], s0, v48
	v_lshlrev_b32_e32 v47, 2, v48
	s_and_saveexec_b64 s[8:9], s[0:1]
	s_cbranch_execz .LBB0_3
; %bb.2:
	s_load_dwordx2 s[10:11], s[4:5], 0x18
	s_waitcnt lgkmcnt(0)
	v_mov_b32_e32 v12, s7
	v_add_u32_e32 v13, 0x200, v47
	s_load_dwordx4 s[16:19], s[10:11], 0x0
	s_waitcnt lgkmcnt(0)
	v_mad_u64_u32 v[0:1], s[10:11], s18, v20, 0
	v_mad_u64_u32 v[2:3], s[10:11], s16, v48, 0
	;; [unrolled: 1-line block ×4, first 2 shown]
	v_mov_b32_e32 v1, v4
	v_lshlrev_b64 v[0:1], 2, v[0:1]
	v_mov_b32_e32 v3, v5
	v_mov_b32_e32 v6, s3
	v_lshlrev_b64 v[2:3], 2, v[2:3]
	v_add_co_u32_e32 v0, vcc, s2, v0
	v_addc_co_u32_e32 v1, vcc, v6, v1, vcc
	v_add_co_u32_e32 v0, vcc, v0, v2
	s_mul_i32 s2, s17, 0x16c
	s_mul_hi_u32 s3, s16, 0x16c
	v_addc_co_u32_e32 v1, vcc, v1, v3, vcc
	s_add_i32 s2, s3, s2
	s_mul_i32 s3, s16, 0x16c
	v_mov_b32_e32 v3, s2
	v_add_co_u32_e32 v2, vcc, s3, v0
	v_addc_co_u32_e32 v3, vcc, v1, v3, vcc
	global_load_dword v4, v[0:1], off
	global_load_dword v5, v[2:3], off
	global_load_dword v6, v47, s[6:7]
	global_load_dword v7, v47, s[6:7] offset:364
	v_mov_b32_e32 v1, s2
	v_add_co_u32_e32 v0, vcc, s3, v2
	v_addc_co_u32_e32 v1, vcc, v3, v1, vcc
	global_load_dword v2, v[0:1], off
	global_load_dword v3, v47, s[6:7] offset:728
	v_mov_b32_e32 v8, s2
	v_add_co_u32_e32 v0, vcc, s3, v0
	v_addc_co_u32_e32 v1, vcc, v1, v8, vcc
	global_load_dword v8, v[0:1], off
	;; [unrolled: 5-line block ×3, first 2 shown]
	global_load_dword v11, v47, s[6:7] offset:1456
	v_add_co_u32_e32 v17, vcc, s6, v47
	v_addc_co_u32_e32 v12, vcc, 0, v12, vcc
	v_mov_b32_e32 v18, s2
	v_add_co_u32_e32 v0, vcc, s3, v0
	v_addc_co_u32_e32 v1, vcc, v1, v18, vcc
	global_load_dword v14, v47, s[6:7] offset:1820
	global_load_dword v15, v47, s[6:7] offset:2184
	;; [unrolled: 1-line block ×3, first 2 shown]
	global_load_dword v18, v[0:1], off
	v_mov_b32_e32 v19, s2
	v_add_co_u32_e32 v0, vcc, s3, v0
	v_addc_co_u32_e32 v1, vcc, v1, v19, vcc
	global_load_dword v19, v[0:1], off
	v_mov_b32_e32 v21, s2
	v_add_co_u32_e32 v0, vcc, s3, v0
	v_addc_co_u32_e32 v1, vcc, v1, v21, vcc
	s_movk_i32 s10, 0x1000
	v_mov_b32_e32 v27, s2
	s_waitcnt vmcnt(14)
	v_lshrrev_b32_e32 v22, 16, v4
	s_waitcnt vmcnt(12)
	v_mul_f16_sdwa v23, v6, v4 dst_sel:DWORD dst_unused:UNUSED_PAD src0_sel:WORD_1 src1_sel:DWORD
	v_mul_f16_sdwa v24, v6, v22 dst_sel:DWORD dst_unused:UNUSED_PAD src0_sel:WORD_1 src1_sel:DWORD
	v_fma_f16 v22, v6, v22, -v23
	v_lshrrev_b32_e32 v23, 16, v5
	s_waitcnt vmcnt(11)
	v_mul_f16_sdwa v25, v7, v5 dst_sel:DWORD dst_unused:UNUSED_PAD src0_sel:WORD_1 src1_sel:DWORD
	v_fma_f16 v4, v6, v4, v24
	v_mul_f16_sdwa v6, v7, v23 dst_sel:DWORD dst_unused:UNUSED_PAD src0_sel:WORD_1 src1_sel:DWORD
	s_waitcnt vmcnt(10)
	v_lshrrev_b32_e32 v24, 16, v2
	v_fma_f16 v23, v7, v23, -v25
	s_waitcnt vmcnt(9)
	v_mul_f16_sdwa v25, v3, v2 dst_sel:DWORD dst_unused:UNUSED_PAD src0_sel:WORD_1 src1_sel:DWORD
	v_pack_b32_f16 v4, v4, v22
	v_fma_f16 v5, v7, v5, v6
	v_mul_f16_sdwa v6, v3, v24 dst_sel:DWORD dst_unused:UNUSED_PAD src0_sel:WORD_1 src1_sel:DWORD
	s_waitcnt vmcnt(8)
	v_lshrrev_b32_e32 v22, 16, v8
	v_fma_f16 v7, v3, v24, -v25
	s_waitcnt vmcnt(7)
	v_mul_f16_sdwa v24, v9, v8 dst_sel:DWORD dst_unused:UNUSED_PAD src0_sel:WORD_1 src1_sel:DWORD
	v_fma_f16 v2, v3, v2, v6
	v_mul_f16_sdwa v3, v9, v22 dst_sel:DWORD dst_unused:UNUSED_PAD src0_sel:WORD_1 src1_sel:DWORD
	v_fma_f16 v6, v9, v22, -v24
	v_fma_f16 v3, v9, v8, v3
	v_pack_b32_f16 v3, v3, v6
	global_load_dword v6, v[0:1], off
	v_pack_b32_f16 v5, v5, v23
	v_pack_b32_f16 v2, v2, v7
	ds_write2_b32 v47, v4, v5 offset1:91
	ds_write2_b32 v13, v2, v3 offset0:54 offset1:145
	v_mov_b32_e32 v2, s2
	v_add_co_u32_e32 v0, vcc, s3, v0
	v_addc_co_u32_e32 v1, vcc, v1, v2, vcc
	s_waitcnt vmcnt(7)
	v_lshrrev_b32_e32 v22, 16, v10
	global_load_dword v7, v[0:1], off
	v_add_co_u32_e32 v0, vcc, s3, v0
	s_waitcnt vmcnt(7)
	v_mul_f16_sdwa v4, v11, v22 dst_sel:DWORD dst_unused:UNUSED_PAD src0_sel:WORD_1 src1_sel:DWORD
	v_addc_co_u32_e32 v1, vcc, v1, v2, vcc
	v_mul_f16_sdwa v23, v11, v10 dst_sel:DWORD dst_unused:UNUSED_PAD src0_sel:WORD_1 src1_sel:DWORD
	v_fma_f16 v4, v11, v10, v4
	global_load_dword v8, v[0:1], off
	global_load_dword v9, v47, s[6:7] offset:2912
	global_load_dword v10, v47, s[6:7] offset:3276
	v_add_co_u32_e32 v0, vcc, s3, v0
	v_addc_co_u32_e32 v1, vcc, v1, v2, vcc
	v_fma_f16 v5, v11, v22, -v23
	global_load_dword v11, v[0:1], off
	v_add_co_u32_e32 v0, vcc, s3, v0
	v_addc_co_u32_e32 v1, vcc, v1, v2, vcc
	global_load_dword v13, v[0:1], off
	global_load_dword v21, v47, s[6:7] offset:3640
	global_load_dword v22, v47, s[6:7] offset:4004
	v_add_co_u32_e32 v0, vcc, s3, v0
	v_addc_co_u32_e32 v1, vcc, v1, v2, vcc
	v_add_co_u32_e32 v2, vcc, s10, v17
	global_load_dword v23, v[0:1], off
	v_addc_co_u32_e32 v3, vcc, 0, v12, vcc
	global_load_dword v12, v[2:3], off offset:272
	v_mov_b32_e32 v17, s2
	v_add_co_u32_e32 v0, vcc, s3, v0
	v_addc_co_u32_e32 v1, vcc, v1, v17, vcc
	global_load_dword v17, v[0:1], off
	global_load_dword v24, v[2:3], off offset:636
	v_mov_b32_e32 v25, s2
	v_add_co_u32_e32 v0, vcc, s3, v0
	v_addc_co_u32_e32 v1, vcc, v1, v25, vcc
	global_load_dword v25, v[0:1], off
	global_load_dword v26, v[2:3], off offset:1000
	v_add_co_u32_e32 v0, vcc, s3, v0
	v_addc_co_u32_e32 v1, vcc, v1, v27, vcc
	global_load_dword v27, v[0:1], off
	global_load_dword v28, v[2:3], off offset:1364
	v_pack_b32_f16 v4, v4, v5
	v_mov_b32_e32 v5, s2
	v_add_co_u32_e32 v0, vcc, s3, v0
	v_addc_co_u32_e32 v1, vcc, v1, v5, vcc
	global_load_dword v5, v[0:1], off
	global_load_dword v29, v[2:3], off offset:1728
	s_waitcnt vmcnt(20)
	v_lshrrev_b32_e32 v0, 16, v18
	v_mul_f16_sdwa v1, v14, v0 dst_sel:DWORD dst_unused:UNUSED_PAD src0_sel:WORD_1 src1_sel:DWORD
	v_mul_f16_sdwa v2, v14, v18 dst_sel:DWORD dst_unused:UNUSED_PAD src0_sel:WORD_1 src1_sel:DWORD
	v_fma_f16 v1, v14, v18, v1
	v_fma_f16 v0, v14, v0, -v2
	v_pack_b32_f16 v0, v1, v0
	v_add_u32_e32 v1, 0x400, v47
	ds_write2_b32 v1, v4, v0 offset0:108 offset1:199
	s_waitcnt vmcnt(19)
	v_lshrrev_b32_e32 v0, 16, v19
	v_mul_f16_sdwa v1, v15, v0 dst_sel:DWORD dst_unused:UNUSED_PAD src0_sel:WORD_1 src1_sel:DWORD
	v_mul_f16_sdwa v2, v15, v19 dst_sel:DWORD dst_unused:UNUSED_PAD src0_sel:WORD_1 src1_sel:DWORD
	v_fma_f16 v1, v15, v19, v1
	v_fma_f16 v0, v15, v0, -v2
	v_pack_b32_f16 v0, v1, v0
	s_waitcnt vmcnt(18)
	v_lshrrev_b32_e32 v1, 16, v6
	v_mul_f16_sdwa v2, v16, v1 dst_sel:DWORD dst_unused:UNUSED_PAD src0_sel:WORD_1 src1_sel:DWORD
	v_mul_f16_sdwa v3, v16, v6 dst_sel:DWORD dst_unused:UNUSED_PAD src0_sel:WORD_1 src1_sel:DWORD
	v_fma_f16 v2, v16, v6, v2
	v_fma_f16 v1, v16, v1, -v3
	v_pack_b32_f16 v1, v2, v1
	v_add_u32_e32 v2, 0x800, v47
	ds_write2_b32 v2, v0, v1 offset0:34 offset1:125
	s_waitcnt vmcnt(17)
	v_lshrrev_b32_e32 v0, 16, v7
	s_waitcnt vmcnt(15)
	v_mul_f16_sdwa v1, v9, v0 dst_sel:DWORD dst_unused:UNUSED_PAD src0_sel:WORD_1 src1_sel:DWORD
	v_mul_f16_sdwa v2, v9, v7 dst_sel:DWORD dst_unused:UNUSED_PAD src0_sel:WORD_1 src1_sel:DWORD
	v_fma_f16 v1, v9, v7, v1
	v_fma_f16 v0, v9, v0, -v2
	v_pack_b32_f16 v0, v1, v0
	v_lshrrev_b32_e32 v1, 16, v8
	s_waitcnt vmcnt(14)
	v_mul_f16_sdwa v2, v10, v1 dst_sel:DWORD dst_unused:UNUSED_PAD src0_sel:WORD_1 src1_sel:DWORD
	v_mul_f16_sdwa v3, v10, v8 dst_sel:DWORD dst_unused:UNUSED_PAD src0_sel:WORD_1 src1_sel:DWORD
	v_fma_f16 v2, v10, v8, v2
	v_fma_f16 v1, v10, v1, -v3
	v_pack_b32_f16 v1, v2, v1
	v_add_u32_e32 v2, 0xa00, v47
	ds_write2_b32 v2, v0, v1 offset0:88 offset1:179
	s_waitcnt vmcnt(13)
	v_lshrrev_b32_e32 v0, 16, v11
	s_waitcnt vmcnt(11)
	v_mul_f16_sdwa v1, v21, v0 dst_sel:DWORD dst_unused:UNUSED_PAD src0_sel:WORD_1 src1_sel:DWORD
	v_mul_f16_sdwa v2, v21, v11 dst_sel:DWORD dst_unused:UNUSED_PAD src0_sel:WORD_1 src1_sel:DWORD
	v_fma_f16 v1, v21, v11, v1
	v_fma_f16 v0, v21, v0, -v2
	v_pack_b32_f16 v0, v1, v0
	v_lshrrev_b32_e32 v1, 16, v13
	s_waitcnt vmcnt(10)
	v_mul_f16_sdwa v2, v22, v1 dst_sel:DWORD dst_unused:UNUSED_PAD src0_sel:WORD_1 src1_sel:DWORD
	v_mul_f16_sdwa v3, v22, v13 dst_sel:DWORD dst_unused:UNUSED_PAD src0_sel:WORD_1 src1_sel:DWORD
	v_fma_f16 v2, v22, v13, v2
	v_fma_f16 v1, v22, v1, -v3
	v_pack_b32_f16 v1, v2, v1
	v_add_u32_e32 v2, 0xc00, v47
	ds_write2_b32 v2, v0, v1 offset0:142 offset1:233
	s_waitcnt vmcnt(9)
	v_lshrrev_b32_e32 v0, 16, v23
	s_waitcnt vmcnt(8)
	v_mul_f16_sdwa v1, v12, v0 dst_sel:DWORD dst_unused:UNUSED_PAD src0_sel:WORD_1 src1_sel:DWORD
	v_mul_f16_sdwa v2, v12, v23 dst_sel:DWORD dst_unused:UNUSED_PAD src0_sel:WORD_1 src1_sel:DWORD
	v_fma_f16 v1, v12, v23, v1
	v_fma_f16 v0, v12, v0, -v2
	v_pack_b32_f16 v0, v1, v0
	s_waitcnt vmcnt(7)
	v_lshrrev_b32_e32 v1, 16, v17
	s_waitcnt vmcnt(6)
	v_mul_f16_sdwa v2, v24, v1 dst_sel:DWORD dst_unused:UNUSED_PAD src0_sel:WORD_1 src1_sel:DWORD
	v_mul_f16_sdwa v3, v24, v17 dst_sel:DWORD dst_unused:UNUSED_PAD src0_sel:WORD_1 src1_sel:DWORD
	v_fma_f16 v2, v24, v17, v2
	v_fma_f16 v1, v24, v1, -v3
	v_pack_b32_f16 v1, v2, v1
	v_add_u32_e32 v2, 0x1000, v47
	ds_write2_b32 v2, v0, v1 offset0:68 offset1:159
	s_waitcnt vmcnt(5)
	v_lshrrev_b32_e32 v0, 16, v25
	s_waitcnt vmcnt(4)
	v_mul_f16_sdwa v1, v26, v0 dst_sel:DWORD dst_unused:UNUSED_PAD src0_sel:WORD_1 src1_sel:DWORD
	v_mul_f16_sdwa v2, v26, v25 dst_sel:DWORD dst_unused:UNUSED_PAD src0_sel:WORD_1 src1_sel:DWORD
	v_fma_f16 v1, v26, v25, v1
	v_fma_f16 v0, v26, v0, -v2
	v_pack_b32_f16 v0, v1, v0
	s_waitcnt vmcnt(3)
	v_lshrrev_b32_e32 v1, 16, v27
	s_waitcnt vmcnt(2)
	v_mul_f16_sdwa v2, v28, v1 dst_sel:DWORD dst_unused:UNUSED_PAD src0_sel:WORD_1 src1_sel:DWORD
	v_mul_f16_sdwa v3, v28, v27 dst_sel:DWORD dst_unused:UNUSED_PAD src0_sel:WORD_1 src1_sel:DWORD
	v_fma_f16 v2, v28, v27, v2
	v_fma_f16 v1, v28, v1, -v3
	v_pack_b32_f16 v1, v2, v1
	v_add_u32_e32 v2, 0x1200, v47
	ds_write2_b32 v2, v0, v1 offset0:122 offset1:213
	s_waitcnt vmcnt(1)
	v_lshrrev_b32_e32 v0, 16, v5
	s_waitcnt vmcnt(0)
	v_mul_f16_sdwa v1, v29, v0 dst_sel:DWORD dst_unused:UNUSED_PAD src0_sel:WORD_1 src1_sel:DWORD
	v_mul_f16_sdwa v2, v29, v5 dst_sel:DWORD dst_unused:UNUSED_PAD src0_sel:WORD_1 src1_sel:DWORD
	v_fma_f16 v1, v29, v5, v1
	v_fma_f16 v0, v29, v0, -v2
	v_pack_b32_f16 v0, v1, v0
	ds_write_b32 v47, v0 offset:5824
.LBB0_3:
	s_or_b64 exec, exec, s[8:9]
	s_waitcnt lgkmcnt(0)
	s_barrier
	s_waitcnt lgkmcnt(0)
                                        ; implicit-def: $vgpr0
                                        ; implicit-def: $vgpr4
                                        ; implicit-def: $vgpr23
                                        ; implicit-def: $vgpr12
                                        ; implicit-def: $vgpr36
                                        ; implicit-def: $vgpr37
                                        ; implicit-def: $vgpr14
                                        ; implicit-def: $vgpr39
                                        ; implicit-def: $vgpr40
                                        ; implicit-def: $vgpr31
                                        ; implicit-def: $vgpr41
                                        ; implicit-def: $vgpr38
                                        ; implicit-def: $vgpr11
                                        ; implicit-def: $vgpr32
                                        ; implicit-def: $vgpr33
                                        ; implicit-def: $vgpr9
                                        ; implicit-def: $vgpr34
                                        ; implicit-def: $vgpr35
                                        ; implicit-def: $vgpr7
                                        ; implicit-def: $vgpr24
                                        ; implicit-def: $vgpr25
                                        ; implicit-def: $vgpr3
                                        ; implicit-def: $vgpr26
                                        ; implicit-def: $vgpr29
                                        ; implicit-def: $vgpr30
	s_and_saveexec_b64 s[2:3], s[0:1]
	s_cbranch_execz .LBB0_5
; %bb.4:
	v_add_u32_e32 v4, 0x400, v47
	ds_read2_b32 v[6:7], v4 offset0:108 offset1:199
	v_add_u32_e32 v4, 0x800, v47
	ds_read2_b32 v[8:9], v4 offset0:34 offset1:125
	v_add_u32_e32 v4, 0xa00, v47
	v_add_u32_e32 v2, 0x200, v47
	ds_read2_b32 v[10:11], v4 offset0:88 offset1:179
	v_add_u32_e32 v4, 0xc00, v47
	v_add_u32_e32 v12, 0x1000, v47
	;; [unrolled: 1-line block ×3, first 2 shown]
	ds_read2_b32 v[0:1], v47 offset1:91
	ds_read2_b32 v[2:3], v2 offset0:54 offset1:145
	ds_read2_b32 v[4:5], v4 offset0:142 offset1:233
	;; [unrolled: 1-line block ×4, first 2 shown]
	ds_read_b32 v31, v47 offset:5824
	s_waitcnt lgkmcnt(5)
	v_lshrrev_b32_e32 v30, 16, v1
	s_waitcnt lgkmcnt(4)
	v_lshrrev_b32_e32 v29, 16, v2
	v_lshrrev_b32_e32 v26, 16, v3
	;; [unrolled: 1-line block ×8, first 2 shown]
	s_waitcnt lgkmcnt(3)
	v_lshrrev_b32_e32 v23, 16, v4
	v_lshrrev_b32_e32 v38, 16, v5
	s_waitcnt lgkmcnt(2)
	v_lshrrev_b32_e32 v36, 16, v12
	v_lshrrev_b32_e32 v37, 16, v13
	;; [unrolled: 3-line block ×3, first 2 shown]
	s_waitcnt lgkmcnt(0)
	v_lshrrev_b32_e32 v41, 16, v31
.LBB0_5:
	s_or_b64 exec, exec, s[2:3]
	v_sub_f16_e32 v49, v30, v41
	v_add_f16_e32 v56, v31, v1
	s_movk_i32 s3, 0x39e9
	v_mul_f16_e32 v42, 0xb964, v49
	v_sub_f16_e32 v50, v29, v40
	v_fma_f16 v16, v56, s3, v42
	s_movk_i32 s8, 0x3722
	v_mul_f16_e32 v43, 0xbb29, v49
	s_movk_i32 s2, 0x2de8
	v_add_f16_e32 v59, v15, v2
	v_mul_f16_e32 v44, 0xbbf7, v50
	v_add_f16_e32 v16, v16, v0
	v_fma_f16 v17, v56, s8, v43
	s_mov_b32 s9, 0xb8d2
	v_fma_f16 v18, v59, s2, v44
	v_mul_f16_e32 v45, 0xba62, v50
	v_sub_f16_e32 v51, v26, v39
	v_add_f16_e32 v17, v17, v0
	v_add_f16_e32 v16, v18, v16
	v_fma_f16 v18, v59, s9, v45
	v_add_f16_e32 v62, v14, v3
	v_mul_f16_e32 v46, 0xba62, v51
	v_add_f16_e32 v17, v18, v17
	v_fma_f16 v18, v62, s9, v46
	s_mov_b32 s10, 0xbbdd
	v_mul_f16_e32 v54, 0x31e1, v51
	v_sub_f16_e32 v52, v25, v37
	v_add_f16_e32 v16, v18, v16
	v_fma_f16 v18, v62, s10, v54
	v_add_f16_e32 v65, v13, v6
	v_mul_f16_e32 v55, 0xb1e1, v52
	v_add_f16_e32 v17, v18, v17
	v_fma_f16 v18, v65, s10, v55
	s_mov_b32 s11, 0xb461
	v_mul_f16_e32 v57, 0x3bb2, v52
	v_sub_f16_e32 v53, v24, v36
	v_add_f16_e32 v16, v18, v16
	v_fma_f16 v18, v65, s11, v57
	s_mov_b32 s14, 0xbacd
	v_add_f16_e32 v68, v12, v7
	v_mul_f16_e32 v58, 0x3836, v53
	v_add_f16_e32 v17, v18, v17
	v_fma_f16 v18, v68, s14, v58
	v_mul_f16_e32 v60, 0x3964, v53
	v_sub_f16_e32 v69, v35, v38
	v_add_f16_e32 v16, v18, v16
	v_fma_f16 v18, v68, s3, v60
	v_add_f16_e32 v71, v5, v8
	v_mul_f16_e32 v61, 0x3bb2, v69
	v_add_f16_e32 v17, v18, v17
	v_fma_f16 v18, v71, s11, v61
	s_movk_i32 s15, 0x3b76
	v_mul_f16_e32 v63, 0xb5c8, v69
	v_sub_f16_e32 v77, v34, v23
	v_add_f16_e32 v16, v18, v16
	v_fma_f16 v18, v71, s15, v63
	v_add_f16_e32 v72, v4, v9
	v_mul_f16_e32 v64, 0x3b29, v77
	v_add_f16_e32 v17, v18, v17
	v_fma_f16 v18, v72, s8, v64
	v_mul_f16_e32 v66, 0xbbf7, v77
	v_sub_f16_e32 v80, v33, v32
	v_add_f16_e32 v16, v18, v16
	v_fma_f16 v18, v72, s2, v66
	v_add_f16_e32 v85, v11, v10
	v_mul_f16_e32 v67, 0x35c8, v80
	v_add_f16_e32 v17, v18, v17
	v_fma_f16 v18, v85, s15, v67
	v_mul_f16_e32 v70, 0xb836, v80
	v_add_f16_e32 v22, v18, v16
	v_fma_f16 v16, v85, s14, v70
	;; [unrolled: 3-line block ×18, first 2 shown]
	v_mul_f16_e32 v27, 0xb836, v49
	v_add_f16_e32 v18, v16, v17
	v_fma_f16 v16, v56, s14, -v27
	v_mul_f16_e32 v28, 0x3b29, v50
	v_add_f16_e32 v16, v16, v0
	v_fma_f16 v17, v59, s8, -v28
	;; [unrolled: 3-line block ×4, first 2 shown]
	v_add_f16_e32 v17, v84, v17
	v_mul_f16_e32 v84, 0xbbf7, v51
	v_fma_f16 v86, v62, s2, -v84
	v_add_f16_e32 v16, v86, v16
	v_mul_f16_e32 v86, 0xb836, v51
	v_fma_f16 v87, v62, s14, -v86
	;; [unrolled: 3-line block ×4, first 2 shown]
	v_add_f16_e32 v17, v92, v17
	v_mul_f16_e32 v92, 0xb5c8, v53
	v_fma_f16 v27, v56, s14, v27
	v_fma_f16 v95, v68, s15, -v92
	v_add_f16_e32 v27, v27, v0
	v_fma_f16 v28, v59, s8, v28
	v_add_f16_e32 v16, v95, v16
	v_mul_f16_e32 v95, 0xba62, v53
	v_add_f16_e32 v27, v28, v27
	v_fma_f16 v28, v56, s10, v81
	v_fma_f16 v96, v68, s9, -v95
	v_add_f16_e32 v28, v28, v0
	v_fma_f16 v81, v59, s15, v83
	v_add_f16_e32 v17, v96, v17
	v_mul_f16_e32 v96, 0xb1e1, v69
	v_add_f16_e32 v28, v81, v28
	;; [unrolled: 7-line block ×7, first 2 shown]
	v_fma_f16 v28, v85, s11, v104
	v_add_f16_e32 v28, v28, v27
	v_fma_f16 v27, v85, s2, v105
	v_add_f16_e32 v27, v27, v81
	v_mul_f16_e32 v81, 0xb5c8, v49
	v_fma_f16 v83, v56, s15, v81
	v_add_f16_e32 v84, v83, v0
	v_mul_f16_e32 v83, 0xb964, v50
	v_fma_f16 v86, v59, s3, v83
	v_add_f16_e32 v84, v86, v84
	v_sub_f16_e32 v86, v1, v31
	v_add_f16_e32 v144, v41, v30
	v_mul_f16_e32 v95, 0xb5c8, v86
	v_sub_f16_e32 v89, v2, v15
	v_fma_f16 v87, v144, s15, -v95
	v_add_f16_e32 v139, v40, v29
	v_mul_f16_e32 v96, 0xb964, v89
	v_add_f16_sdwa v87, v87, v0 dst_sel:DWORD dst_unused:UNUSED_PAD src0_sel:DWORD src1_sel:WORD_1
	v_fma_f16 v92, v139, s3, -v96
	v_mul_f16_e32 v101, 0xb964, v86
	v_add_f16_e32 v87, v92, v87
	v_fma_f16 v92, v144, s3, -v101
	v_mul_f16_e32 v102, 0xbbf7, v89
	v_mul_f16_e32 v109, 0xbbf7, v49
	v_fma_f16 v106, v85, s2, -v105
	v_add_f16_sdwa v92, v92, v0 dst_sel:DWORD dst_unused:UNUSED_PAD src0_sel:DWORD src1_sel:WORD_1
	v_fma_f16 v103, v139, s2, -v102
	v_mul_f16_e32 v105, 0xbb29, v86
	v_fma_f16 v49, v56, s2, v109
	v_mul_f16_e32 v111, 0xb1e1, v50
	v_add_f16_e32 v92, v103, v92
	v_fma_f16 v103, v144, s8, -v105
	v_mul_f16_e32 v107, 0xba62, v89
	v_add_f16_e32 v49, v49, v0
	v_fma_f16 v50, v59, s10, v111
	v_mul_f16_e32 v113, 0xbbf7, v86
	v_add_f16_sdwa v103, v103, v0 dst_sel:DWORD dst_unused:UNUSED_PAD src0_sel:DWORD src1_sel:WORD_1
	v_fma_f16 v104, v139, s9, -v107
	v_add_f16_e32 v49, v50, v49
	v_fma_f16 v50, v144, s2, -v113
	v_mul_f16_e32 v114, 0xb1e1, v89
	v_add_f16_e32 v17, v106, v17
	v_add_f16_e32 v106, v104, v103
	v_add_f16_sdwa v50, v50, v0 dst_sel:DWORD dst_unused:UNUSED_PAD src0_sel:DWORD src1_sel:WORD_1
	v_fma_f16 v103, v139, s10, -v114
	v_mul_f16_e32 v120, 0xbbb2, v86
	v_add_f16_e32 v50, v103, v50
	v_fma_f16 v103, v144, s11, -v120
	v_mul_f16_e32 v121, 0x3836, v89
	v_add_f16_sdwa v103, v103, v0 dst_sel:DWORD dst_unused:UNUSED_PAD src0_sel:DWORD src1_sel:WORD_1
	v_fma_f16 v104, v139, s14, -v121
	v_mul_f16_e32 v128, 0xba62, v86
	v_add_f16_e32 v108, v104, v103
	v_fma_f16 v103, v144, s9, -v128
	v_mul_f16_e32 v129, 0x3bb2, v89
	v_add_f16_sdwa v103, v103, v0 dst_sel:DWORD dst_unused:UNUSED_PAD src0_sel:DWORD src1_sel:WORD_1
	v_fma_f16 v104, v139, s11, -v129
	v_add_f16_e32 v112, v104, v103
	v_mul_f16_e32 v103, 0xb836, v86
	v_fma_f16 v104, v144, s14, v103
	v_mul_f16_e32 v110, 0x3b29, v89
	v_add_f16_sdwa v104, v104, v0 dst_sel:DWORD dst_unused:UNUSED_PAD src0_sel:DWORD src1_sel:WORD_1
	v_fma_f16 v115, v139, s8, v110
	v_fma_f16 v103, v144, s14, -v103
	v_add_f16_e32 v115, v115, v104
	v_add_f16_sdwa v103, v103, v0 dst_sel:DWORD dst_unused:UNUSED_PAD src0_sel:DWORD src1_sel:WORD_1
	v_fma_f16 v104, v139, s8, -v110
	v_mul_f16_e32 v86, 0xb1e1, v86
	v_add_f16_e32 v116, v104, v103
	v_fma_f16 v103, v144, s10, v86
	v_mul_f16_e32 v89, 0x35c8, v89
	v_add_f16_sdwa v103, v103, v0 dst_sel:DWORD dst_unused:UNUSED_PAD src0_sel:DWORD src1_sel:WORD_1
	v_fma_f16 v104, v139, s15, v89
	v_fma_f16 v86, v144, s10, -v86
	v_add_f16_e32 v118, v104, v103
	v_add_f16_sdwa v86, v86, v0 dst_sel:DWORD dst_unused:UNUSED_PAD src0_sel:DWORD src1_sel:WORD_1
	v_fma_f16 v89, v139, s15, -v89
	v_mul_f16_e32 v103, 0xbb29, v51
	v_add_f16_e32 v86, v89, v86
	v_fma_f16 v89, v62, s8, v103
	v_add_f16_e32 v84, v89, v84
	v_sub_f16_e32 v89, v3, v14
	v_add_f16_e32 v151, v39, v26
	v_mul_f16_e32 v104, 0xbb29, v89
	v_fma_f16 v110, v151, s8, -v104
	v_add_f16_e32 v87, v110, v87
	v_mul_f16_e32 v110, 0xba62, v89
	v_fma_f16 v117, v151, s9, -v110
	;; [unrolled: 3-line block ×3, first 2 shown]
	v_add_f16_e32 v122, v119, v106
	v_mul_f16_e32 v119, 0x3bb2, v51
	v_fma_f16 v51, v62, s11, v119
	v_mul_f16_e32 v125, 0x3bb2, v89
	v_mul_f16_e32 v143, 0xb5c8, v89
	v_add_f16_e32 v49, v51, v49
	v_fma_f16 v51, v151, s11, -v125
	v_mul_f16_e32 v134, 0x3964, v89
	v_fma_f16 v106, v151, s15, -v143
	v_add_f16_e32 v50, v51, v50
	v_fma_f16 v51, v151, s3, -v134
	v_add_f16_e32 v112, v106, v112
	v_mul_f16_e32 v106, 0xbbf7, v89
	v_add_f16_e32 v51, v51, v108
	v_fma_f16 v108, v151, s2, v106
	v_fma_f16 v106, v151, s2, -v106
	v_mul_f16_e32 v89, 0xb836, v89
	v_add_f16_e32 v123, v106, v116
	v_fma_f16 v106, v151, s14, v89
	v_add_f16_e32 v118, v106, v118
	v_fma_f16 v89, v151, s14, -v89
	v_mul_f16_e32 v106, 0xbbf7, v52
	v_add_f16_e32 v86, v89, v86
	v_fma_f16 v89, v65, s2, v106
	v_add_f16_e32 v84, v89, v84
	v_sub_f16_e32 v89, v6, v13
	v_add_f16_e32 v115, v108, v115
	v_add_f16_e32 v157, v37, v25
	v_mul_f16_e32 v108, 0xbbf7, v89
	v_mul_f16_e32 v127, 0x35c8, v52
	v_fma_f16 v116, v157, s2, -v108
	v_fma_f16 v52, v65, s15, v127
	v_mul_f16_e32 v133, 0x35c8, v89
	v_add_f16_e32 v87, v116, v87
	v_mul_f16_e32 v116, 0xb1e1, v89
	v_add_f16_e32 v49, v52, v49
	v_fma_f16 v52, v157, s15, -v133
	v_mul_f16_e32 v142, 0xbb29, v89
	v_fma_f16 v124, v157, s10, -v116
	v_add_f16_e32 v50, v52, v50
	v_fma_f16 v52, v157, s8, -v142
	v_mul_f16_e32 v150, 0xb836, v89
	v_add_f16_e32 v92, v124, v92
	v_mul_f16_e32 v124, 0x3bb2, v89
	v_add_f16_e32 v51, v52, v51
	v_fma_f16 v52, v157, s14, -v150
	v_fma_f16 v126, v157, s11, -v124
	v_add_f16_e32 v52, v52, v112
	v_mul_f16_e32 v112, 0x3a62, v89
	v_add_f16_e32 v122, v126, v122
	v_fma_f16 v126, v157, s9, v112
	v_fma_f16 v112, v157, s9, -v112
	v_mul_f16_e32 v89, 0x3964, v89
	v_add_f16_e32 v130, v112, v123
	v_fma_f16 v112, v157, s3, v89
	v_add_f16_e32 v118, v112, v118
	v_fma_f16 v89, v157, s3, -v89
	v_mul_f16_e32 v112, 0xbbb2, v53
	v_add_f16_e32 v86, v89, v86
	v_fma_f16 v89, v68, s11, v112
	v_add_f16_e32 v84, v89, v84
	v_sub_f16_e32 v89, v7, v12
	v_mul_f16_e32 v136, 0xbb29, v53
	v_add_f16_e32 v126, v126, v115
	v_add_f16_e32 v159, v36, v24
	v_mul_f16_e32 v115, 0xbbb2, v89
	v_fma_f16 v53, v68, s8, v136
	v_mul_f16_e32 v141, 0xbb29, v89
	v_fma_f16 v123, v159, s11, -v115
	v_add_f16_e32 v49, v53, v49
	v_fma_f16 v53, v159, s8, -v141
	v_mul_f16_e32 v149, 0xb1e1, v89
	v_add_f16_e32 v87, v123, v87
	v_mul_f16_e32 v123, 0x3836, v89
	v_add_f16_e32 v50, v53, v50
	v_fma_f16 v53, v159, s10, -v149
	v_mul_f16_e32 v156, 0x3bf7, v89
	v_fma_f16 v131, v159, s14, -v123
	v_mul_f16_e32 v132, 0x3964, v89
	v_add_f16_e32 v51, v53, v51
	v_fma_f16 v53, v159, s2, -v156
	v_add_f16_e32 v92, v131, v92
	v_fma_f16 v131, v159, s3, -v132
	v_add_f16_e32 v52, v53, v52
	v_mul_f16_e32 v53, 0xb5c8, v89
	v_add_f16_e32 v135, v131, v122
	v_fma_f16 v122, v159, s15, v53
	v_mul_f16_e32 v89, 0xba62, v89
	v_add_f16_e32 v126, v122, v126
	v_fma_f16 v53, v159, s15, -v53
	v_fma_f16 v122, v159, s9, v89
	v_add_f16_e32 v53, v53, v130
	v_add_f16_e32 v130, v122, v118
	v_fma_f16 v89, v159, s9, -v89
	v_mul_f16_e32 v118, 0xba62, v69
	v_add_f16_e32 v86, v89, v86
	v_fma_f16 v89, v71, s9, v118
	v_add_f16_e32 v84, v89, v84
	v_sub_f16_e32 v89, v8, v5
	v_mul_f16_e32 v145, 0xb836, v69
	v_add_f16_e32 v163, v38, v35
	v_mul_f16_e32 v122, 0xba62, v89
	v_fma_f16 v69, v71, s14, v145
	v_mul_f16_e32 v148, 0xb836, v89
	v_fma_f16 v131, v163, s9, -v122
	v_add_f16_e32 v49, v69, v49
	v_fma_f16 v69, v163, s14, -v148
	v_mul_f16_e32 v155, 0x3bf7, v89
	v_add_f16_e32 v87, v131, v87
	v_mul_f16_e32 v131, 0x3bb2, v89
	v_add_f16_e32 v50, v69, v50
	v_fma_f16 v69, v163, s2, -v155
	v_mul_f16_e32 v162, 0xb964, v89
	v_fma_f16 v137, v163, s11, -v131
	v_mul_f16_e32 v140, 0xb5c8, v89
	v_add_f16_e32 v51, v69, v51
	v_fma_f16 v69, v163, s3, -v162
	v_add_f16_e32 v92, v137, v92
	v_fma_f16 v137, v163, s15, -v140
	v_add_f16_e32 v52, v69, v52
	v_mul_f16_e32 v69, 0xb1e1, v89
	v_add_f16_e32 v135, v137, v135
	v_fma_f16 v137, v163, s10, v69
	v_fma_f16 v69, v163, s10, -v69
	v_add_f16_e32 v53, v69, v53
	v_mul_f16_e32 v69, 0x3b29, v89
	v_add_f16_e32 v137, v137, v126
	v_fma_f16 v89, v163, s8, v69
	v_fma_f16 v69, v163, s8, -v69
	v_mul_f16_e32 v126, 0xb836, v77
	v_add_f16_e32 v69, v69, v86
	v_fma_f16 v86, v72, s14, v126
	v_add_f16_e32 v84, v86, v84
	v_sub_f16_e32 v86, v9, v4
	v_mul_f16_e32 v152, 0x3a62, v77
	v_add_f16_e32 v166, v23, v34
	v_fma_f16 v77, v72, s9, v152
	v_mul_f16_e32 v154, 0x3a62, v86
	v_add_f16_e32 v89, v89, v130
	v_mul_f16_e32 v130, 0xb836, v86
	v_add_f16_e32 v49, v77, v49
	v_fma_f16 v77, v166, s9, -v154
	v_mul_f16_e32 v161, 0xb5c8, v86
	v_fma_f16 v138, v166, s14, -v130
	v_add_f16_e32 v164, v77, v50
	v_fma_f16 v50, v166, s15, -v161
	v_mul_f16_e32 v165, 0xb1e1, v86
	v_add_f16_e32 v87, v138, v87
	v_mul_f16_e32 v138, 0x3b29, v86
	v_add_f16_e32 v168, v50, v51
	v_fma_f16 v50, v166, s10, -v165
	v_fma_f16 v146, v166, s8, -v138
	v_mul_f16_e32 v147, 0xbbf7, v86
	v_add_f16_e32 v169, v50, v52
	v_mul_f16_e32 v50, 0x3964, v86
	v_sub_f16_e32 v174, v10, v11
	v_add_f16_e32 v92, v146, v92
	v_fma_f16 v146, v166, s2, -v147
	v_fma_f16 v51, v166, s3, v50
	v_fma_f16 v50, v166, s3, -v50
	v_add_f16_e32 v167, v32, v33
	v_mul_f16_e32 v153, 0xb836, v174
	v_add_f16_e32 v158, v146, v135
	v_add_f16_e32 v171, v50, v53
	v_mul_f16_e32 v50, 0xbbb2, v86
	v_fma_f16 v53, v167, s14, -v153
	v_add_f16_e32 v170, v51, v137
	v_fma_f16 v51, v166, s11, v50
	v_fma_f16 v50, v166, s11, -v50
	v_add_f16_e32 v53, v53, v158
	v_mul_f16_e32 v158, 0x3964, v80
	v_add_f16_e32 v173, v50, v69
	v_fma_f16 v69, v85, s3, v158
	v_mul_f16_e32 v160, 0x3964, v174
	v_add_f16_e32 v77, v69, v49
	v_fma_f16 v49, v167, s3, -v160
	v_mul_f16_e32 v135, 0xb1e1, v80
	v_add_f16_e32 v80, v49, v164
	v_mul_f16_e32 v164, 0xba62, v174
	v_fma_f16 v50, v85, s10, v135
	v_fma_f16 v49, v167, s9, -v164
	v_add_f16_e32 v50, v50, v84
	v_add_f16_e32 v84, v49, v168
	v_mul_f16_e32 v168, 0x3b29, v174
	v_fma_f16 v49, v167, s8, -v168
	v_add_f16_e32 v86, v49, v169
	v_mul_f16_e32 v49, 0xbbb2, v174
	s_load_dwordx2 s[8:9], s[4:5], 0x20
	s_nop 0
	s_load_dwordx2 s[4:5], s[4:5], 0x8
	v_mul_f16_e32 v137, 0xb1e1, v174
	v_fma_f16 v69, v167, s11, v49
	v_fma_f16 v49, v167, s11, -v49
	v_add_f16_e32 v172, v51, v89
	v_fma_f16 v51, v167, s10, -v137
	v_mul_f16_e32 v146, 0x35c8, v174
	v_add_f16_e32 v89, v49, v171
	v_mul_f16_e32 v49, 0x3bf7, v174
	v_add_f16_e32 v51, v51, v87
	v_fma_f16 v52, v167, s15, -v146
	v_fma_f16 v87, v167, s2, v49
	v_fma_f16 v49, v167, s2, -v49
	v_add_f16_e32 v52, v52, v92
	v_add_f16_e32 v69, v69, v170
	;; [unrolled: 1-line block ×4, first 2 shown]
	v_mul_lo_u16_e32 v49, 17, v48
	s_waitcnt lgkmcnt(0)
	s_barrier
	s_and_saveexec_b64 s[2:3], s[0:1]
	s_cbranch_execz .LBB0_7
; %bb.6:
	v_mul_f16_e32 v169, 0x3b76, v56
	v_mul_f16_e32 v171, 0x39e9, v56
	;; [unrolled: 1-line block ×12, first 2 shown]
	v_sub_f16_e32 v56, v56, v90
	v_mul_f16_e32 v189, 0x3722, v62
	v_mul_f16_e32 v191, 0xb8d2, v62
	v_mul_f16_e32 v193, 0xbbdd, v62
	v_mul_f16_e32 v195, 0xb461, v62
	v_mul_f16_e32 v197, 0x39e9, v62
	v_mul_f16_e32 v62, 0x3b76, v62
	v_add_f16_e32 v56, v56, v0
	v_sub_f16_e32 v59, v59, v91
	v_mul_f16_e32 v199, 0x2de8, v65
	v_mul_f16_e32 v201, 0xbbdd, v65
	v_mul_f16_e32 v203, 0xb461, v65
	v_mul_f16_e32 v205, 0x3b76, v65
	v_mul_f16_e32 v207, 0x3722, v65
	v_mul_f16_e32 v65, 0xbacd, v65
	v_add_f16_e32 v56, v59, v56
	;; [unrolled: 8-line block ×6, first 2 shown]
	v_sub_f16_e32 v59, v72, v99
	v_mul_f16_e32 v178, 0xb461, v144
	v_add_f16_e32 v56, v59, v56
	v_sub_f16_e32 v59, v85, v100
	v_mul_f16_e32 v188, 0xbacd, v139
	v_add_f16_e32 v56, v59, v56
	v_add_f16_e32 v59, v120, v178
	v_mul_f16_e32 v198, 0x39e9, v151
	v_add_f16_sdwa v59, v59, v0 dst_sel:DWORD dst_unused:UNUSED_PAD src0_sel:DWORD src1_sel:WORD_1
	v_add_f16_e32 v62, v121, v188
	v_mul_f16_e32 v208, 0x3722, v157
	v_add_f16_e32 v59, v62, v59
	v_add_f16_e32 v62, v134, v198
	v_mul_f16_e32 v218, 0xbbdd, v159
	v_add_f16_e32 v59, v62, v59
	;; [unrolled: 3-line block ×5, first 2 shown]
	v_add_f16_e32 v62, v161, v238
	v_add_f16_e32 v59, v62, v59
	;; [unrolled: 1-line block ×4, first 2 shown]
	v_sub_f16_e32 v62, v177, v73
	v_add_f16_e32 v62, v62, v0
	v_sub_f16_e32 v65, v187, v74
	v_add_f16_e32 v62, v65, v62
	;; [unrolled: 2-line block ×6, first 2 shown]
	v_sub_f16_e32 v65, v237, v82
	v_mul_f16_e32 v176, 0x2de8, v144
	v_add_f16_e32 v62, v65, v62
	v_sub_f16_e32 v65, v247, v88
	v_mul_f16_e32 v186, 0xbbdd, v139
	v_add_f16_e32 v62, v65, v62
	v_add_f16_e32 v65, v113, v176
	v_sub_f16_e32 v42, v171, v42
	v_mul_f16_e32 v196, 0xb461, v151
	v_add_f16_sdwa v65, v65, v0 dst_sel:DWORD dst_unused:UNUSED_PAD src0_sel:DWORD src1_sel:WORD_1
	v_add_f16_e32 v68, v114, v186
	v_add_f16_e32 v42, v42, v0
	v_sub_f16_e32 v44, v181, v44
	v_mul_f16_e32 v206, 0x3b76, v157
	v_add_f16_e32 v65, v68, v65
	v_add_f16_e32 v68, v125, v196
	v_add_f16_e32 v42, v44, v42
	v_sub_f16_e32 v44, v191, v46
	v_mul_f16_e32 v216, 0x3722, v159
	v_add_f16_e32 v65, v68, v65
	;; [unrolled: 5-line block ×7, first 2 shown]
	v_sub_f16_e32 v68, v175, v109
	v_sub_f16_e32 v43, v173, v43
	v_add_f16_e32 v42, v44, v42
	v_add_f16_e32 v44, v95, v170
	v_mul_f16_e32 v190, 0x3722, v151
	v_add_f16_e32 v68, v68, v0
	v_sub_f16_e32 v71, v185, v111
	v_add_f16_e32 v43, v43, v0
	v_sub_f16_e32 v45, v183, v45
	v_add_f16_sdwa v44, v44, v0 dst_sel:DWORD dst_unused:UNUSED_PAD src0_sel:DWORD src1_sel:WORD_1
	v_add_f16_e32 v46, v96, v180
	v_mul_f16_e32 v200, 0x2de8, v157
	v_add_f16_e32 v68, v71, v68
	v_sub_f16_e32 v71, v195, v119
	v_add_f16_e32 v43, v45, v43
	v_sub_f16_e32 v45, v193, v54
	v_add_f16_e32 v44, v46, v44
	v_add_f16_e32 v46, v104, v190
	v_mul_f16_e32 v210, 0xb461, v159
	v_add_f16_e32 v68, v71, v68
	v_sub_f16_e32 v71, v205, v127
	v_add_f16_e32 v43, v45, v43
	v_sub_f16_e32 v45, v203, v57
	v_add_f16_e32 v44, v46, v44
	;; [unrolled: 7-line block ×5, first 2 shown]
	v_add_f16_e32 v46, v130, v230
	v_mul_f16_e32 v172, 0x39e9, v144
	v_mul_f16_e32 v174, 0x3722, v144
	;; [unrolled: 1-line block ×3, first 2 shown]
	v_add_f16_e32 v68, v71, v68
	v_sub_f16_e32 v71, v245, v158
	v_add_f16_e32 v43, v45, v43
	v_sub_f16_e32 v45, v243, v70
	v_add_f16_e32 v44, v46, v44
	v_add_f16_e32 v46, v137, v240
	;; [unrolled: 1-line block ×8, first 2 shown]
	v_sub_f16_e32 v46, v169, v81
	v_add_f16_sdwa v128, v128, v0 dst_sel:DWORD dst_unused:UNUSED_PAD src0_sel:DWORD src1_sel:WORD_1
	v_add_f16_sdwa v71, v71, v0 dst_sel:DWORD dst_unused:UNUSED_PAD src0_sel:DWORD src1_sel:WORD_1
	;; [unrolled: 1-line block ×3, first 2 shown]
	v_add_f16_e32 v46, v46, v0
	v_add_f16_sdwa v30, v30, v0 dst_sel:DWORD dst_unused:UNUSED_PAD src0_sel:DWORD src1_sel:WORD_1
	v_add_f16_e32 v0, v1, v0
	v_mul_f16_e32 v182, 0x2de8, v139
	v_add_f16_e32 v29, v29, v30
	v_add_f16_e32 v0, v2, v0
	v_mul_f16_e32 v192, 0xb8d2, v151
	v_add_f16_e32 v54, v102, v182
	v_add_f16_e32 v26, v26, v29
	v_add_f16_e32 v0, v3, v0
	v_mul_f16_e32 v202, 0xbbdd, v157
	v_add_f16_e32 v45, v54, v45
	v_add_f16_e32 v54, v110, v192
	v_add_f16_e32 v25, v25, v26
	v_add_f16_e32 v0, v6, v0
	v_mul_f16_e32 v212, 0xbacd, v159
	v_add_f16_e32 v45, v54, v45
	;; [unrolled: 5-line block ×5, first 2 shown]
	v_add_f16_e32 v54, v138, v232
	v_add_f16_e32 v24, v33, v24
	;; [unrolled: 1-line block ×7, first 2 shown]
	v_mul_f16_e32 v184, 0xb8d2, v139
	v_add_f16_e32 v45, v54, v45
	v_sub_f16_e32 v54, v179, v83
	v_add_f16_e32 v23, v23, v24
	v_add_f16_e32 v0, v4, v0
	v_mul_f16_e32 v139, 0xb461, v139
	v_mul_f16_e32 v194, 0xbbdd, v151
	v_add_f16_e32 v72, v107, v184
	v_add_f16_e32 v46, v54, v46
	v_sub_f16_e32 v54, v189, v103
	v_add_f16_e32 v23, v38, v23
	v_add_f16_e32 v0, v5, v0
	v_mul_f16_e32 v151, 0x3b76, v151
	v_mul_f16_e32 v204, 0xb461, v157
	v_add_f16_e32 v129, v129, v139
	v_add_f16_e32 v71, v72, v71
	v_add_f16_e32 v72, v117, v194
	v_add_f16_e32 v46, v54, v46
	v_sub_f16_e32 v54, v199, v106
	v_add_f16_e32 v23, v36, v23
	v_add_f16_e32 v0, v12, v0
	v_mul_f16_e32 v157, 0xbacd, v157
	v_mul_f16_e32 v214, 0x39e9, v159
	v_add_f16_e32 v128, v129, v128
	v_add_f16_e32 v129, v143, v151
	v_add_f16_e32 v71, v72, v71
	v_add_f16_e32 v72, v124, v204
	v_add_f16_e32 v46, v54, v46
	v_sub_f16_e32 v54, v209, v112
	v_add_f16_e32 v23, v37, v23
	v_add_f16_e32 v0, v13, v0
	v_mul_f16_e32 v159, 0x2de8, v159
	v_mul_f16_e32 v224, 0x3b76, v163
	v_add_f16_e32 v128, v129, v128
	;; [unrolled: 10-line block ×4, first 2 shown]
	v_add_f16_e32 v129, v162, v163
	v_add_f16_e32 v71, v72, v71
	;; [unrolled: 1-line block ×4, first 2 shown]
	v_sub_f16_e32 v54, v239, v135
	v_add_f16_sdwa v23, v41, v23 dst_sel:WORD_1 dst_unused:UNUSED_PAD src0_sel:DWORD src1_sel:DWORD
	v_add_f16_e32 v0, v31, v0
	v_mul_f16_e32 v167, 0x3722, v167
	v_add_f16_e32 v128, v129, v128
	v_add_f16_e32 v129, v165, v166
	;; [unrolled: 1-line block ×5, first 2 shown]
	v_or_b32_e32 v0, v23, v0
	v_lshlrev_b32_e32 v1, 2, v49
	v_add_f16_e32 v128, v129, v128
	v_add_f16_e32 v129, v168, v167
	;; [unrolled: 1-line block ×3, first 2 shown]
	ds_write_b32 v1, v0
	v_pack_b32_f16 v0, v42, v45
	v_pack_b32_f16 v2, v46, v44
	v_add_f16_e32 v128, v129, v128
	ds_write2_b32 v1, v2, v0 offset0:1 offset1:2
	v_pack_b32_f16 v0, v68, v65
	v_pack_b32_f16 v2, v43, v71
	ds_write2_b32 v1, v2, v0 offset0:3 offset1:4
	v_pack_b32_f16 v0, v56, v128
	v_pack_b32_f16 v2, v62, v59
	s_mov_b32 s10, 0x5040100
	ds_write2_b32 v1, v2, v0 offset0:5 offset1:6
	v_perm_b32 v0, v87, v17, s10
	v_perm_b32 v2, v69, v16, s10
	ds_write2_b32 v1, v2, v0 offset0:7 offset1:8
	v_perm_b32 v0, v89, v28, s10
	v_perm_b32 v2, v92, v27, s10
	;; [unrolled: 3-line block ×5, first 2 shown]
	ds_write2_b32 v1, v2, v0 offset0:15 offset1:16
.LBB0_7:
	s_or_b64 exec, exec, s[2:3]
	v_add_u32_e32 v0, 0x680, v47
	s_waitcnt lgkmcnt(0)
	s_barrier
	ds_read2_b32 v[10:11], v0 offset0:26 offset1:247
	v_add_u32_e32 v0, 0xd80, v47
	ds_read2_b32 v[8:9], v47 offset1:221
	ds_read2_b32 v[12:13], v0 offset0:20 offset1:241
	ds_read_b32 v14, v47 offset:5304
	s_movk_i32 s2, 0x66
	v_cmp_gt_u16_e64 s[2:3], s2, v48
	s_and_saveexec_b64 s[10:11], s[2:3]
	s_cbranch_execz .LBB0_9
; %bb.8:
	v_add_u32_e32 v0, 0x180, v47
	ds_read2_b32 v[16:17], v0 offset0:23 offset1:244
	v_add_u32_e32 v0, 0x880, v47
	v_add_u32_e32 v1, 0xf80, v47
	ds_read2_b32 v[27:28], v0 offset0:17 offset1:238
	ds_read2_b32 v[18:19], v1 offset0:11 offset1:232
	ds_read_b32 v77, v47 offset:5780
	s_waitcnt lgkmcnt(3)
	v_lshrrev_b32_e32 v69, 16, v16
	v_lshrrev_b32_e32 v87, 16, v17
	s_waitcnt lgkmcnt(2)
	v_lshrrev_b32_e32 v92, 16, v27
	v_lshrrev_b32_e32 v89, 16, v28
	;; [unrolled: 3-line block ×3, first 2 shown]
	s_waitcnt lgkmcnt(0)
	v_lshrrev_b32_e32 v80, 16, v77
.LBB0_9:
	s_or_b64 exec, exec, s[10:11]
	s_movk_i32 s10, 0xf1
	v_mul_lo_u16_sdwa v0, v48, s10 dst_sel:DWORD dst_unused:UNUSED_PAD src0_sel:BYTE_0 src1_sel:DWORD
	v_lshrrev_b16_e32 v42, 12, v0
	v_mul_lo_u16_e32 v0, 17, v42
	v_sub_u16_e32 v0, v48, v0
	v_and_b32_e32 v43, 0xff, v0
	v_mul_u32_u24_e32 v0, 6, v43
	v_add_u16_e32 v1, 0x77, v48
	v_lshlrev_b32_e32 v0, 2, v0
	v_mul_lo_u16_sdwa v2, v1, s10 dst_sel:DWORD dst_unused:UNUSED_PAD src0_sel:BYTE_0 src1_sel:DWORD
	global_load_dwordx4 v[4:7], v0, s[4:5]
	global_load_dwordx2 v[25:26], v0, s[4:5] offset:16
	v_lshrrev_b16_e32 v54, 12, v2
	v_mul_lo_u16_e32 v2, 17, v54
	v_sub_u16_e32 v1, v1, v2
	v_and_b32_e32 v55, 0xff, v1
	v_mul_u32_u24_e32 v0, 6, v55
	v_lshlrev_b32_e32 v15, 2, v0
	global_load_dwordx4 v[0:3], v15, s[4:5]
	global_load_dwordx2 v[23:24], v15, s[4:5] offset:16
	s_waitcnt lgkmcnt(2)
	v_lshrrev_b32_e32 v15, 16, v9
	v_lshrrev_b32_e32 v29, 16, v10
	s_waitcnt lgkmcnt(1)
	v_lshrrev_b32_e32 v32, 16, v13
	s_waitcnt lgkmcnt(0)
	v_lshrrev_b32_e32 v33, 16, v14
	v_lshrrev_b32_e32 v30, 16, v11
	;; [unrolled: 1-line block ×3, first 2 shown]
	s_movk_i32 s14, 0x2b26
	s_mov_b32 s19, 0xbcab
	s_movk_i32 s17, 0x39e0
	s_mov_b32 s18, 0xb9e0
	s_movk_i32 s20, 0x3574
	s_movk_i32 s16, 0x3b00
	s_load_dwordx4 s[8:11], s[8:9], 0x0
	v_mul_u32_u24_e32 v42, 0x77, v42
	s_mov_b32 s15, 0xb846
	s_waitcnt vmcnt(0) lgkmcnt(0)
	s_barrier
	v_mul_f16_sdwa v34, v15, v4 dst_sel:DWORD dst_unused:UNUSED_PAD src0_sel:DWORD src1_sel:WORD_1
	v_mul_f16_sdwa v35, v9, v4 dst_sel:DWORD dst_unused:UNUSED_PAD src0_sel:DWORD src1_sel:WORD_1
	;; [unrolled: 1-line block ×12, first 2 shown]
	v_fma_f16 v9, v9, v4, -v34
	v_fma_f16 v15, v15, v4, v35
	v_fma_f16 v10, v10, v5, -v36
	v_fma_f16 v29, v29, v5, v37
	;; [unrolled: 2-line block ×6, first 2 shown]
	v_add_f16_e32 v41, v9, v14
	v_add_f16_e32 v44, v15, v33
	v_sub_f16_e32 v9, v9, v14
	v_sub_f16_e32 v14, v15, v33
	v_add_f16_e32 v15, v10, v13
	v_add_f16_e32 v33, v29, v32
	v_sub_f16_e32 v10, v10, v13
	v_sub_f16_e32 v13, v29, v32
	;; [unrolled: 4-line block ×4, first 2 shown]
	v_sub_f16_e32 v15, v29, v15
	v_add_f16_e32 v29, v29, v30
	v_add_f16_e32 v30, v32, v31
	v_mul_f16_sdwa v57, v87, v0 dst_sel:DWORD dst_unused:UNUSED_PAD src0_sel:DWORD src1_sel:WORD_1
	v_mul_f16_sdwa v58, v17, v0 dst_sel:DWORD dst_unused:UNUSED_PAD src0_sel:DWORD src1_sel:WORD_1
	;; [unrolled: 1-line block ×3, first 2 shown]
	v_add_f16_e32 v31, v29, v8
	v_add_f16_sdwa v8, v30, v8 dst_sel:DWORD dst_unused:UNUSED_PAD src0_sel:DWORD src1_sel:WORD_1
	v_mul_f16_sdwa v60, v27, v1 dst_sel:DWORD dst_unused:UNUSED_PAD src0_sel:DWORD src1_sel:WORD_1
	v_fma_f16 v17, v17, v0, -v57
	v_fma_f16 v34, v87, v0, v58
	v_fma_f16 v27, v27, v1, -v59
	v_sub_f16_e32 v46, v33, v44
	v_sub_f16_e32 v44, v44, v32
	v_sub_f16_e32 v33, v32, v33
	v_add_f16_e32 v57, v12, v13
	v_sub_f16_e32 v58, v11, v10
	v_sub_f16_e32 v59, v12, v13
	v_lshlrev_b32_e32 v32, 16, v8
	v_mul_f16_sdwa v61, v89, v2 dst_sel:DWORD dst_unused:UNUSED_PAD src0_sel:DWORD src1_sel:WORD_1
	v_fma_f16 v35, v92, v1, v60
	v_add_f16_e32 v56, v11, v10
	v_sub_f16_e32 v11, v9, v11
	v_sub_f16_e32 v12, v14, v12
	;; [unrolled: 1-line block ×4, first 2 shown]
	v_add_f16_e32 v14, v57, v14
	v_or_b32_e32 v60, v32, v31
	v_mul_f16_e32 v32, 0x3a52, v41
	v_mul_f16_e32 v41, 0x3a52, v44
	;; [unrolled: 1-line block ×5, first 2 shown]
	v_mul_f16_sdwa v62, v28, v2 dst_sel:DWORD dst_unused:UNUSED_PAD src0_sel:DWORD src1_sel:WORD_1
	v_fma_f16 v28, v28, v2, -v61
	v_add_f16_e32 v9, v56, v9
	v_mul_f16_e32 v56, 0x2b26, v33
	v_mul_f16_e32 v59, 0x3b00, v10
	;; [unrolled: 1-line block ×3, first 2 shown]
	v_fma_f16 v29, v29, s19, v31
	v_fma_f16 v15, v15, s14, v32
	v_fma_f16 v31, v45, s17, -v44
	v_fma_f16 v32, v45, s18, -v32
	v_fma_f16 v44, v11, s20, v57
	v_fma_f16 v45, v12, s20, v58
	s_mov_b32 s20, 0xb574
	v_mul_f16_sdwa v63, v86, v3 dst_sel:DWORD dst_unused:UNUSED_PAD src0_sel:DWORD src1_sel:WORD_1
	v_mul_f16_sdwa v65, v84, v23 dst_sel:DWORD dst_unused:UNUSED_PAD src0_sel:DWORD src1_sel:WORD_1
	v_mul_f16_sdwa v66, v19, v23 dst_sel:DWORD dst_unused:UNUSED_PAD src0_sel:DWORD src1_sel:WORD_1
	v_mul_f16_sdwa v67, v80, v24 dst_sel:DWORD dst_unused:UNUSED_PAD src0_sel:DWORD src1_sel:WORD_1
	v_mul_f16_sdwa v68, v77, v24 dst_sel:DWORD dst_unused:UNUSED_PAD src0_sel:DWORD src1_sel:WORD_1
	v_fma_f16 v8, v30, s19, v8
	v_fma_f16 v30, v33, s14, v41
	v_fma_f16 v33, v46, s17, -v56
	v_fma_f16 v41, v46, s18, -v41
	;; [unrolled: 1-line block ×5, first 2 shown]
	s_movk_i32 s20, 0x370e
	v_mul_f16_sdwa v64, v18, v3 dst_sel:DWORD dst_unused:UNUSED_PAD src0_sel:DWORD src1_sel:WORD_1
	v_fma_f16 v37, v18, v3, -v63
	v_fma_f16 v18, v19, v23, -v65
	v_fma_f16 v19, v84, v23, v66
	v_fma_f16 v39, v77, v24, -v67
	v_fma_f16 v40, v80, v24, v68
	v_fma_f16 v13, v13, s16, -v58
	v_add_f16_e32 v15, v15, v29
	v_add_f16_e32 v30, v30, v8
	;; [unrolled: 1-line block ×6, first 2 shown]
	v_fma_f16 v32, v9, s20, v44
	v_fma_f16 v41, v14, s20, v45
	;; [unrolled: 1-line block ×8, first 2 shown]
	v_add_f16_e32 v44, v41, v15
	v_sub_f16_e32 v58, v8, v9
	v_add_f16_e32 v65, v9, v8
	v_sub_f16_e32 v66, v15, v41
	v_add_f16_e32 v8, v17, v39
	v_add_f16_e32 v14, v34, v40
	v_add_f16_e32 v12, v27, v18
	v_add_f16_e32 v15, v35, v19
	v_add_f16_e32 v46, v11, v29
	v_sub_f16_e32 v59, v31, v13
	v_add_f16_e32 v61, v10, v33
	v_add_f16_e32 v62, v13, v31
	v_sub_f16_e32 v63, v33, v10
	v_sub_f16_e32 v64, v29, v11
	;; [unrolled: 1-line block ×6, first 2 shown]
	v_add_f16_e32 v10, v28, v37
	v_add_f16_e32 v11, v36, v38
	v_sub_f16_e32 v19, v37, v28
	v_sub_f16_e32 v27, v38, v36
	v_add_f16_e32 v28, v12, v8
	v_add_f16_e32 v29, v15, v14
	v_sub_f16_e32 v45, v30, v32
	v_add_f16_e32 v67, v32, v30
	v_sub_f16_e32 v30, v8, v10
	v_sub_f16_e32 v31, v14, v11
	v_add_f16_e32 v32, v19, v18
	v_add_f16_e32 v33, v27, v13
	v_sub_f16_e32 v36, v19, v18
	v_sub_f16_e32 v37, v27, v13
	;; [unrolled: 1-line block ×4, first 2 shown]
	v_add_f16_e32 v28, v10, v28
	v_add_f16_e32 v29, v11, v29
	v_sub_f16_e32 v34, v10, v12
	v_sub_f16_e32 v35, v11, v15
	v_add_f16_e32 v40, v32, v17
	v_add_f16_e32 v41, v33, v9
	;; [unrolled: 1-line block ×4, first 2 shown]
	v_mul_f16_e32 v32, 0x3a52, v30
	v_mul_f16_e32 v38, 0x3a52, v31
	;; [unrolled: 1-line block ×4, first 2 shown]
	v_add_lshl_u32 v56, v42, v43, 2
	v_pack_b32_f16 v42, v44, v45
	v_fma_f16 v19, v28, s19, v10
	v_fma_f16 v31, v29, s19, v11
	;; [unrolled: 1-line block ×6, first 2 shown]
	ds_write2_b32 v56, v60, v42 offset1:17
	v_pack_b32_f16 v42, v46, v58
	v_pack_b32_f16 v43, v59, v61
	v_add_f16_e32 v16, v16, v19
	v_add_f16_e32 v27, v27, v31
	v_fma_f16 v29, v40, s20, v28
	v_fma_f16 v30, v41, s20, v30
	ds_write2_b32 v56, v42, v43 offset0:34 offset1:51
	v_pack_b32_f16 v42, v62, v63
	v_pack_b32_f16 v43, v64, v65
	v_sub_f16_e32 v28, v16, v30
	v_add_f16_e32 v57, v29, v27
	ds_write2_b32 v56, v42, v43 offset0:68 offset1:85
	v_pack_b32_f16 v42, v66, v67
	ds_write_b32 v56, v42 offset:408
	s_and_saveexec_b64 s[14:15], s[2:3]
	s_cbranch_execz .LBB0_11
; %bb.10:
	v_mul_f16_e32 v34, 0x2b26, v34
	v_mul_f16_e32 v35, 0x2b26, v35
	;; [unrolled: 1-line block ×4, first 2 shown]
	v_sub_f16_e32 v17, v18, v17
	s_mov_b32 s19, 0xbb00
	v_sub_f16_e32 v14, v15, v14
	v_sub_f16_e32 v8, v12, v8
	;; [unrolled: 1-line block ×3, first 2 shown]
	v_mul_f16_e32 v40, 0x370e, v40
	v_mul_f16_e32 v41, 0x370e, v41
	v_fma_f16 v18, v17, s19, -v39
	v_fma_f16 v15, v14, s18, -v38
	;; [unrolled: 1-line block ×8, first 2 shown]
	v_add_f16_e32 v18, v40, v18
	v_add_f16_e32 v15, v15, v31
	v_add_f16_e32 v12, v12, v19
	v_add_f16_e32 v13, v41, v13
	v_add_f16_e32 v14, v14, v31
	v_add_f16_e32 v17, v40, v17
	v_add_f16_e32 v9, v41, v9
	v_add_f16_e32 v8, v8, v19
	v_add_f16_e32 v38, v18, v15
	v_sub_f16_e32 v32, v12, v13
	v_sub_f16_e32 v31, v14, v17
	v_add_f16_e32 v19, v9, v8
	v_add_f16_e32 v14, v17, v14
	v_sub_f16_e32 v8, v8, v9
	v_sub_f16_e32 v9, v15, v18
	v_add_f16_e32 v12, v13, v12
	v_add_f16_e32 v15, v30, v16
	v_mul_u32_u24_e32 v16, 0x77, v54
	v_add_lshl_u32 v16, v16, v55, 2
	v_pack_b32_f16 v9, v12, v9
	v_pack_b32_f16 v8, v8, v14
	v_sub_f16_e32 v13, v27, v29
	s_mov_b32 s16, 0x5040100
	ds_write2_b32 v16, v9, v8 offset0:34 offset1:51
	v_pack_b32_f16 v8, v19, v31
	v_pack_b32_f16 v9, v32, v38
	v_perm_b32 v10, v11, v10, s16
	v_pack_b32_f16 v11, v15, v13
	ds_write2_b32 v16, v8, v9 offset0:68 offset1:85
	v_perm_b32 v8, v57, v28, s16
	ds_write2_b32 v16, v10, v11 offset1:17
	ds_write_b32 v16, v8 offset:408
.LBB0_11:
	s_or_b64 exec, exec, s[14:15]
	v_mad_u64_u32 v[29:30], s[4:5], v48, 48, s[4:5]
	s_waitcnt lgkmcnt(0)
	s_barrier
	global_load_dwordx4 v[8:11], v[29:30], off offset:408
	global_load_dwordx4 v[12:15], v[29:30], off offset:424
	global_load_dwordx4 v[16:19], v[29:30], off offset:440
	ds_read_b32 v27, v47
	ds_read2_b32 v[29:30], v47 offset0:119 offset1:238
	v_add_u32_e32 v45, 0x400, v47
	v_add_u32_e32 v44, 0x800, v47
	;; [unrolled: 1-line block ×4, first 2 shown]
	s_waitcnt lgkmcnt(0)
	v_lshrrev_b32_e32 v46, 16, v29
	v_add_u32_e32 v41, 0x1400, v47
	ds_read2_b32 v[31:32], v45 offset0:101 offset1:220
	ds_read2_b32 v[33:34], v44 offset0:83 offset1:202
	;; [unrolled: 1-line block ×5, first 2 shown]
	v_lshrrev_b32_e32 v58, 16, v30
	s_waitcnt lgkmcnt(4)
	v_lshrrev_b32_e32 v59, 16, v31
	v_lshrrev_b32_e32 v60, 16, v32
	s_waitcnt lgkmcnt(3)
	v_lshrrev_b32_e32 v61, 16, v33
	;; [unrolled: 3-line block ×5, first 2 shown]
	v_lshrrev_b32_e32 v68, 16, v40
	s_movk_i32 s14, 0x3b15
	s_movk_i32 s5, 0x388b
	;; [unrolled: 1-line block ×3, first 2 shown]
	s_mov_b32 s15, 0xb5ac
	s_mov_b32 s16, 0xb9fd
	s_mov_b32 s17, 0xbbc4
	s_waitcnt vmcnt(2)
	v_mul_f16_sdwa v69, v46, v8 dst_sel:DWORD dst_unused:UNUSED_PAD src0_sel:DWORD src1_sel:WORD_1
	v_mul_f16_sdwa v70, v29, v8 dst_sel:DWORD dst_unused:UNUSED_PAD src0_sel:DWORD src1_sel:WORD_1
	;; [unrolled: 1-line block ×4, first 2 shown]
	v_fma_f16 v69, v29, v8, -v69
	v_fma_f16 v46, v46, v8, v70
	v_mul_f16_sdwa v73, v59, v10 dst_sel:DWORD dst_unused:UNUSED_PAD src0_sel:DWORD src1_sel:WORD_1
	v_mul_f16_sdwa v74, v31, v10 dst_sel:DWORD dst_unused:UNUSED_PAD src0_sel:DWORD src1_sel:WORD_1
	v_fma_f16 v30, v30, v9, -v71
	v_fma_f16 v58, v58, v9, v72
	v_add_f16_e32 v29, v69, v27
	v_add_f16_sdwa v70, v46, v27 dst_sel:DWORD dst_unused:UNUSED_PAD src0_sel:DWORD src1_sel:WORD_1
	v_mul_f16_sdwa v75, v60, v11 dst_sel:DWORD dst_unused:UNUSED_PAD src0_sel:DWORD src1_sel:WORD_1
	v_mul_f16_sdwa v76, v32, v11 dst_sel:DWORD dst_unused:UNUSED_PAD src0_sel:DWORD src1_sel:WORD_1
	v_fma_f16 v31, v31, v10, -v73
	v_fma_f16 v59, v59, v10, v74
	v_add_f16_e32 v29, v29, v30
	v_add_f16_e32 v70, v70, v58
	s_waitcnt vmcnt(1)
	v_mul_f16_sdwa v77, v61, v12 dst_sel:DWORD dst_unused:UNUSED_PAD src0_sel:DWORD src1_sel:WORD_1
	v_mul_f16_sdwa v78, v33, v12 dst_sel:DWORD dst_unused:UNUSED_PAD src0_sel:DWORD src1_sel:WORD_1
	v_fma_f16 v32, v32, v11, -v75
	v_fma_f16 v60, v60, v11, v76
	v_add_f16_e32 v29, v29, v31
	v_add_f16_e32 v70, v70, v59
	v_mul_f16_sdwa v79, v62, v13 dst_sel:DWORD dst_unused:UNUSED_PAD src0_sel:DWORD src1_sel:WORD_1
	v_mul_f16_sdwa v80, v34, v13 dst_sel:DWORD dst_unused:UNUSED_PAD src0_sel:DWORD src1_sel:WORD_1
	v_fma_f16 v33, v33, v12, -v77
	v_fma_f16 v61, v61, v12, v78
	v_add_f16_e32 v29, v29, v32
	v_add_f16_e32 v70, v70, v60
	;; [unrolled: 6-line block ×4, first 2 shown]
	s_waitcnt vmcnt(0)
	v_mul_f16_sdwa v85, v65, v16 dst_sel:DWORD dst_unused:UNUSED_PAD src0_sel:DWORD src1_sel:WORD_1
	v_mul_f16_sdwa v86, v37, v16 dst_sel:DWORD dst_unused:UNUSED_PAD src0_sel:DWORD src1_sel:WORD_1
	v_fma_f16 v36, v36, v15, -v83
	v_fma_f16 v64, v64, v15, v84
	v_add_f16_e32 v29, v29, v35
	v_add_f16_e32 v70, v70, v63
	v_mul_f16_sdwa v87, v66, v17 dst_sel:DWORD dst_unused:UNUSED_PAD src0_sel:DWORD src1_sel:WORD_1
	v_mul_f16_sdwa v88, v38, v17 dst_sel:DWORD dst_unused:UNUSED_PAD src0_sel:DWORD src1_sel:WORD_1
	v_fma_f16 v37, v37, v16, -v85
	v_fma_f16 v65, v65, v16, v86
	v_add_f16_e32 v29, v29, v36
	v_add_f16_e32 v70, v70, v64
	;; [unrolled: 6-line block ×4, first 2 shown]
	v_fma_f16 v40, v40, v19, -v91
	v_fma_f16 v68, v68, v19, v92
	v_add_f16_e32 v29, v29, v39
	v_add_f16_e32 v70, v70, v67
	;; [unrolled: 1-line block ×3, first 2 shown]
	v_add_f16_sdwa v70, v70, v68 dst_sel:WORD_1 dst_unused:UNUSED_PAD src0_sel:DWORD src1_sel:DWORD
	v_or_b32_e32 v29, v70, v29
	v_add_f16_e32 v70, v69, v40
	v_add_f16_e32 v71, v46, v68
	v_sub_f16_e32 v40, v69, v40
	v_sub_f16_e32 v46, v46, v68
	v_mul_f16_e32 v68, 0xb770, v46
	v_mul_f16_e32 v72, 0xb770, v40
	;; [unrolled: 1-line block ×12, first 2 shown]
	v_fma_f16 v69, v70, s14, -v68
	v_fma_f16 v73, v71, s14, v72
	v_fma_f16 v68, v70, s14, v68
	v_fma_f16 v72, v71, s14, -v72
	v_fma_f16 v75, v70, s5, -v74
	v_fma_f16 v77, v71, s5, v76
	v_fma_f16 v74, v70, s5, v74
	v_fma_f16 v76, v71, s5, -v76
	;; [unrolled: 4-line block ×6, first 2 shown]
	v_add_f16_e32 v69, v69, v27
	v_add_f16_sdwa v73, v73, v27 dst_sel:DWORD dst_unused:UNUSED_PAD src0_sel:DWORD src1_sel:WORD_1
	v_add_f16_e32 v68, v68, v27
	v_add_f16_sdwa v72, v72, v27 dst_sel:DWORD dst_unused:UNUSED_PAD src0_sel:DWORD src1_sel:WORD_1
	;; [unrolled: 2-line block ×12, first 2 shown]
	v_add_f16_e32 v40, v30, v39
	v_sub_f16_e32 v30, v30, v39
	v_sub_f16_e32 v39, v58, v67
	v_add_f16_e32 v70, v58, v67
	v_mul_f16_e32 v58, 0xba95, v39
	v_fma_f16 v67, v40, s5, -v58
	v_add_f16_e32 v67, v67, v69
	v_mul_f16_e32 v69, 0xba95, v30
	v_fma_f16 v58, v40, s5, v58
	v_fma_f16 v71, v70, s5, v69
	v_add_f16_e32 v58, v58, v68
	v_fma_f16 v68, v70, s5, -v69
	v_mul_f16_e32 v69, 0xbb7b, v39
	v_add_f16_e32 v71, v71, v73
	v_add_f16_e32 v68, v68, v72
	v_fma_f16 v72, v40, s15, -v69
	v_mul_f16_e32 v73, 0xbb7b, v30
	v_fma_f16 v69, v40, s15, v69
	v_add_f16_e32 v72, v72, v75
	v_fma_f16 v75, v70, s15, v73
	v_add_f16_e32 v69, v69, v74
	v_fma_f16 v73, v70, s15, -v73
	v_mul_f16_e32 v74, 0xb3a8, v39
	v_add_f16_e32 v75, v75, v77
	v_add_f16_e32 v73, v73, v76
	v_fma_f16 v76, v40, s17, -v74
	v_mul_f16_e32 v77, 0xb3a8, v30
	v_fma_f16 v74, v40, s17, v74
	v_add_f16_e32 v76, v76, v79
	;; [unrolled: 10-line block ×3, first 2 shown]
	v_fma_f16 v83, v70, s16, v81
	v_add_f16_e32 v78, v78, v82
	v_fma_f16 v81, v70, s16, -v81
	v_mul_f16_e32 v82, 0x3bf1, v39
	v_add_f16_e32 v83, v83, v85
	v_add_f16_e32 v81, v81, v84
	v_fma_f16 v84, v40, s4, -v82
	v_mul_f16_e32 v85, 0x3bf1, v30
	v_add_f16_e32 v84, v84, v87
	v_fma_f16 v87, v70, s4, v85
	v_fma_f16 v85, v70, s4, -v85
	v_mul_f16_e32 v30, 0x3770, v30
	v_fma_f16 v82, v40, s4, v82
	v_add_f16_e32 v85, v85, v88
	v_mul_f16_e32 v39, 0x3770, v39
	v_fma_f16 v88, v70, s14, v30
	v_fma_f16 v30, v70, s14, -v30
	v_add_f16_e32 v82, v82, v86
	v_fma_f16 v86, v40, s14, -v39
	v_fma_f16 v39, v40, s14, v39
	v_add_f16_e32 v27, v30, v27
	v_add_f16_e32 v30, v31, v38
	v_sub_f16_e32 v31, v31, v38
	v_sub_f16_e32 v38, v59, v66
	v_add_f16_e32 v39, v39, v46
	v_mul_f16_e32 v46, 0xbbf1, v38
	v_add_f16_e32 v40, v59, v66
	v_fma_f16 v59, v30, s4, -v46
	v_mul_f16_e32 v66, 0xbbf1, v31
	v_fma_f16 v46, v30, s4, v46
	v_add_f16_e32 v59, v59, v67
	v_fma_f16 v67, v40, s4, v66
	v_add_f16_e32 v46, v46, v58
	v_fma_f16 v58, v40, s4, -v66
	v_mul_f16_e32 v66, 0xb3a8, v38
	v_add_f16_e32 v58, v58, v68
	v_fma_f16 v68, v30, s17, -v66
	v_mul_f16_e32 v70, 0xb3a8, v31
	v_fma_f16 v66, v30, s17, v66
	v_add_f16_e32 v67, v67, v71
	v_fma_f16 v71, v40, s17, v70
	v_add_f16_e32 v66, v66, v69
	v_fma_f16 v69, v40, s17, -v70
	v_mul_f16_e32 v70, 0x3b7b, v38
	v_add_f16_e32 v68, v68, v72
	v_add_f16_e32 v69, v69, v73
	v_fma_f16 v72, v30, s15, -v70
	v_mul_f16_e32 v73, 0x3b7b, v31
	v_fma_f16 v70, v30, s15, v70
	v_add_f16_e32 v71, v71, v75
	v_fma_f16 v75, v40, s15, v73
	v_add_f16_e32 v70, v70, v74
	v_fma_f16 v73, v40, s15, -v73
	v_mul_f16_e32 v74, 0x3770, v38
	v_add_f16_e32 v72, v72, v76
	v_add_f16_e32 v73, v73, v77
	v_fma_f16 v76, v30, s14, -v74
	v_mul_f16_e32 v77, 0x3770, v31
	v_fma_f16 v74, v30, s14, v74
	v_add_f16_e32 v75, v75, v79
	v_fma_f16 v79, v40, s14, v77
	v_add_f16_e32 v74, v74, v78
	v_fma_f16 v77, v40, s14, -v77
	v_mul_f16_e32 v78, 0xba95, v38
	v_add_f16_e32 v76, v76, v80
	v_add_f16_e32 v77, v77, v81
	v_fma_f16 v80, v30, s5, -v78
	v_mul_f16_e32 v81, 0xba95, v31
	v_mul_f16_e32 v31, 0xb94e, v31
	v_add_f16_e32 v80, v80, v84
	v_fma_f16 v78, v30, s5, v78
	v_mul_f16_e32 v38, 0xb94e, v38
	v_fma_f16 v84, v40, s16, v31
	v_fma_f16 v31, v40, s16, -v31
	v_add_f16_e32 v78, v78, v82
	v_fma_f16 v82, v30, s16, -v38
	v_fma_f16 v30, v30, s16, v38
	v_add_f16_e32 v27, v31, v27
	v_add_f16_e32 v31, v32, v37
	v_sub_f16_e32 v32, v32, v37
	v_sub_f16_e32 v37, v60, v65
	v_add_f16_e32 v30, v30, v39
	v_mul_f16_e32 v39, 0xbb7b, v37
	v_add_f16_e32 v79, v79, v83
	v_fma_f16 v83, v40, s5, v81
	v_fma_f16 v81, v40, s5, -v81
	v_fma_f16 v40, v31, s15, -v39
	v_add_f16_e32 v38, v60, v65
	v_add_f16_e32 v40, v40, v59
	v_mul_f16_e32 v59, 0xbb7b, v32
	v_fma_f16 v39, v31, s15, v39
	v_add_f16_e32 v39, v39, v46
	v_fma_f16 v46, v38, s15, -v59
	v_add_f16_e32 v46, v46, v58
	v_mul_f16_e32 v58, 0x394e, v37
	v_fma_f16 v60, v38, s15, v59
	v_fma_f16 v59, v31, s16, -v58
	v_fma_f16 v58, v31, s16, v58
	v_mul_f16_e32 v65, 0x394e, v32
	v_add_f16_e32 v58, v58, v66
	v_mul_f16_e32 v66, 0x3770, v37
	v_add_f16_e32 v60, v60, v67
	v_add_f16_e32 v59, v59, v68
	v_fma_f16 v67, v38, s16, v65
	v_fma_f16 v65, v38, s16, -v65
	v_fma_f16 v68, v31, s14, -v66
	v_fma_f16 v66, v31, s14, v66
	v_add_f16_e32 v65, v65, v69
	v_mul_f16_e32 v69, 0x3770, v32
	v_add_f16_e32 v66, v66, v70
	v_mul_f16_e32 v70, 0xbbf1, v37
	v_add_f16_e32 v67, v67, v71
	v_add_f16_e32 v68, v68, v72
	v_fma_f16 v71, v38, s14, v69
	v_fma_f16 v69, v38, s14, -v69
	v_fma_f16 v72, v31, s4, -v70
	v_fma_f16 v70, v31, s4, v70
	v_add_f16_e32 v69, v69, v73
	v_mul_f16_e32 v73, 0xbbf1, v32
	v_add_f16_e32 v70, v70, v74
	v_mul_f16_e32 v74, 0x33a8, v37
	v_add_f16_e32 v71, v71, v75
	v_add_f16_e32 v72, v72, v76
	v_fma_f16 v75, v38, s4, v73
	v_fma_f16 v73, v38, s4, -v73
	v_fma_f16 v76, v31, s17, -v74
	v_fma_f16 v74, v31, s17, v74
	v_mul_f16_e32 v37, 0x3a95, v37
	v_add_f16_e32 v73, v73, v77
	v_mul_f16_e32 v77, 0x33a8, v32
	v_add_f16_e32 v74, v74, v78
	v_fma_f16 v78, v31, s5, -v37
	v_mul_f16_e32 v32, 0x3a95, v32
	v_fma_f16 v31, v31, s5, v37
	v_add_f16_e32 v30, v31, v30
	v_fma_f16 v31, v38, s5, -v32
	v_add_f16_e32 v27, v31, v27
	v_add_f16_e32 v31, v33, v36
	v_sub_f16_e32 v33, v33, v36
	v_sub_f16_e32 v36, v61, v64
	v_mul_f16_e32 v37, 0xb94e, v36
	v_add_f16_e32 v75, v75, v79
	v_add_f16_e32 v76, v76, v80
	v_fma_f16 v79, v38, s17, v77
	v_fma_f16 v77, v38, s17, -v77
	v_fma_f16 v80, v38, s5, v32
	v_fma_f16 v38, v31, s16, -v37
	v_add_f16_e32 v32, v61, v64
	v_add_f16_e32 v38, v38, v40
	v_mul_f16_e32 v40, 0xb94e, v33
	v_fma_f16 v37, v31, s16, v37
	v_fma_f16 v61, v32, s16, v40
	v_add_f16_e32 v37, v37, v39
	v_fma_f16 v39, v32, s16, -v40
	v_mul_f16_e32 v40, 0x3bf1, v36
	v_add_f16_e32 v39, v39, v46
	v_fma_f16 v46, v31, s4, -v40
	v_add_f16_e32 v46, v46, v59
	v_mul_f16_e32 v59, 0x3bf1, v33
	v_fma_f16 v40, v31, s4, v40
	v_add_f16_e32 v40, v40, v58
	v_fma_f16 v58, v32, s4, -v59
	v_add_f16_e32 v65, v58, v65
	v_mul_f16_e32 v58, 0xba95, v36
	v_add_f16_e32 v60, v61, v60
	v_fma_f16 v61, v32, s4, v59
	v_fma_f16 v59, v31, s5, -v58
	v_add_f16_e32 v61, v61, v67
	v_add_f16_e32 v67, v59, v68
	v_mul_f16_e32 v59, 0xba95, v33
	v_fma_f16 v58, v31, s5, v58
	v_add_f16_e32 v66, v58, v66
	v_fma_f16 v58, v32, s5, -v59
	v_add_f16_e32 v69, v58, v69
	v_mul_f16_e32 v58, 0x33a8, v36
	v_fma_f16 v64, v32, s5, v59
	v_fma_f16 v59, v31, s17, -v58
	v_add_f16_e32 v68, v64, v71
	v_add_f16_e32 v71, v59, v72
	v_mul_f16_e32 v59, 0x33a8, v33
	v_fma_f16 v58, v31, s17, v58
	v_add_f16_e32 v70, v58, v70
	v_fma_f16 v58, v32, s17, -v59
	v_add_f16_e32 v73, v58, v73
	v_mul_f16_e32 v58, 0x3770, v36
	v_fma_f16 v64, v32, s17, v59
	v_fma_f16 v59, v31, s14, -v58
	v_add_f16_e32 v86, v86, v90
	v_add_f16_e32 v81, v81, v85
	;; [unrolled: 1-line block ×4, first 2 shown]
	v_mul_f16_e32 v59, 0x3770, v33
	v_fma_f16 v58, v31, s14, v58
	v_add_f16_e32 v87, v87, v89
	v_add_f16_e32 v88, v88, v91
	;; [unrolled: 1-line block ×5, first 2 shown]
	v_fma_f16 v58, v32, s14, -v59
	v_mul_f16_e32 v36, 0xbb7b, v36
	v_add_f16_e32 v83, v83, v87
	v_add_f16_e32 v84, v84, v88
	;; [unrolled: 1-line block ×4, first 2 shown]
	v_fma_f16 v58, v31, s15, -v36
	v_mul_f16_e32 v33, 0xbb7b, v33
	v_add_f16_e32 v79, v79, v83
	v_add_f16_e32 v80, v80, v84
	v_fma_f16 v64, v32, s14, v59
	v_add_f16_e32 v78, v58, v78
	v_fma_f16 v58, v32, s15, v33
	v_fma_f16 v31, v31, s15, v36
	v_sub_f16_e32 v84, v34, v35
	v_add_f16_e32 v76, v64, v79
	v_add_f16_e32 v79, v58, v80
	;; [unrolled: 1-line block ×4, first 2 shown]
	v_mul_f16_e32 v31, 0xb3a8, v84
	v_fma_f16 v30, v32, s15, -v33
	v_sub_f16_e32 v85, v62, v63
	v_fma_f16 v32, v83, s17, v31
	v_add_f16_e32 v82, v34, v35
	v_add_f16_e32 v58, v32, v60
	v_fma_f16 v31, v83, s17, -v31
	v_mul_f16_e32 v32, 0x3770, v85
	v_mul_f16_e32 v33, 0x3770, v84
	v_add_f16_e32 v64, v31, v39
	v_fma_f16 v31, v82, s14, -v32
	v_fma_f16 v34, v83, s14, v33
	v_fma_f16 v32, v82, s14, v32
	v_add_f16_e32 v81, v30, v27
	v_mul_f16_e32 v27, 0xb3a8, v85
	v_add_f16_e32 v59, v34, v61
	v_add_f16_e32 v36, v32, v40
	v_fma_f16 v32, v83, s14, -v33
	v_mul_f16_e32 v33, 0xb94e, v85
	v_mul_f16_e32 v34, 0xb94e, v84
	v_fma_f16 v30, v82, s17, -v27
	v_fma_f16 v27, v82, s17, v27
	v_add_f16_e32 v65, v32, v65
	v_fma_f16 v32, v82, s16, -v33
	v_fma_f16 v35, v83, s16, v34
	v_fma_f16 v33, v82, s16, v33
	v_add_f16_e32 v27, v27, v37
	v_add_f16_e32 v60, v35, v68
	;; [unrolled: 1-line block ×3, first 2 shown]
	v_fma_f16 v33, v83, s16, -v34
	v_mul_f16_e32 v34, 0x3a95, v85
	v_mul_f16_e32 v37, 0x3a95, v84
	v_add_f16_e32 v30, v30, v38
	v_add_f16_e32 v31, v31, v46
	;; [unrolled: 1-line block ×3, first 2 shown]
	v_fma_f16 v33, v82, s5, -v34
	v_fma_f16 v38, v83, s5, v37
	v_fma_f16 v34, v82, s5, v34
	v_mul_f16_e32 v39, 0xbb7b, v84
	v_mul_f16_e32 v46, 0x3bf1, v84
	v_add_f16_e32 v61, v38, v72
	v_add_f16_e32 v38, v34, v70
	v_fma_f16 v34, v83, s5, -v37
	v_mul_f16_e32 v37, 0xbb7b, v85
	v_fma_f16 v40, v83, s15, v39
	v_fma_f16 v68, v83, s4, v46
	v_fma_f16 v46, v83, s4, -v46
	v_add_f16_e32 v32, v32, v67
	v_add_f16_e32 v66, v34, v73
	v_fma_f16 v34, v82, s15, -v37
	v_add_f16_e32 v62, v40, v76
	v_fma_f16 v39, v83, s15, -v39
	v_mul_f16_e32 v40, 0x3bf1, v85
	v_add_f16_e32 v69, v46, v81
	v_pack_b32_f16 v46, v30, v58
	v_add_f16_e32 v33, v33, v71
	v_add_f16_e32 v34, v34, v75
	v_add_f16_e32 v67, v39, v77
	v_fma_f16 v39, v82, s4, -v40
	v_fma_f16 v40, v82, s4, v40
	ds_write_b32 v47, v46 offset:476
	v_pack_b32_f16 v46, v31, v59
	v_pack_b32_f16 v70, v32, v60
	v_add_u32_e32 v71, 0x200, v47
	v_fma_f16 v37, v82, s15, v37
	v_add_f16_e32 v39, v39, v78
	v_add_f16_e32 v68, v68, v79
	v_add_f16_e32 v40, v40, v80
	ds_write2_b32 v71, v46, v70 offset0:110 offset1:229
	v_pack_b32_f16 v46, v33, v61
	v_pack_b32_f16 v71, v34, v62
	v_add_u32_e32 v70, 0x600, v47
	v_add_f16_e32 v37, v37, v74
	ds_write2_b32 v70, v46, v71 offset0:92 offset1:211
	v_pack_b32_f16 v46, v39, v68
	v_pack_b32_f16 v71, v40, v69
	v_add_u32_e32 v72, 0xa00, v47
	ds_write2_b32 v72, v46, v71 offset0:74 offset1:193
	v_pack_b32_f16 v71, v37, v67
	v_pack_b32_f16 v72, v38, v66
	v_add_u32_e32 v46, 0xe00, v47
	ds_write2_b32 v46, v71, v72 offset0:56 offset1:175
	v_pack_b32_f16 v71, v35, v63
	v_pack_b32_f16 v72, v36, v65
	v_add_u32_e32 v73, 0x1200, v47
	ds_write2_b32 v73, v71, v72 offset0:38 offset1:157
	v_pack_b32_f16 v71, v27, v64
	ds_write_b32 v47, v29
	ds_write_b32 v47, v71 offset:5712
	s_waitcnt lgkmcnt(0)
	s_barrier
	s_and_saveexec_b64 s[4:5], s[0:1]
	s_cbranch_execz .LBB0_13
; %bb.12:
	v_mov_b32_e32 v71, s7
	v_add_co_u32_e32 v75, vcc, s6, v47
	v_addc_co_u32_e32 v76, vcc, 0, v71, vcc
	v_add_co_u32_e32 v71, vcc, 0x182c, v75
	v_addc_co_u32_e32 v72, vcc, 0, v76, vcc
	;; [unrolled: 2-line block ×3, first 2 shown]
	global_load_dword v77, v[73:74], off offset:2092
	global_load_dword v81, v[71:72], off offset:364
	;; [unrolled: 1-line block ×11, first 2 shown]
	s_movk_i32 s14, 0x2000
	v_add_co_u32_e32 v73, vcc, s14, v75
	v_addc_co_u32_e32 v74, vcc, 0, v76, vcc
	ds_read_b32 v78, v47
	global_load_dword v91, v[73:74], off offset:3820
	global_load_dword v92, v[73:74], off offset:2364
	;; [unrolled: 1-line block ×6, first 2 shown]
	s_waitcnt lgkmcnt(0)
	v_lshrrev_b32_e32 v71, 16, v78
	s_waitcnt vmcnt(16)
	v_mul_f16_sdwa v72, v71, v77 dst_sel:DWORD dst_unused:UNUSED_PAD src0_sel:DWORD src1_sel:WORD_1
	v_mul_f16_sdwa v73, v78, v77 dst_sel:DWORD dst_unused:UNUSED_PAD src0_sel:DWORD src1_sel:WORD_1
	v_fma_f16 v72, v78, v77, -v72
	v_fma_f16 v71, v71, v77, v73
	v_pack_b32_f16 v71, v72, v71
	ds_write_b32 v47, v71
	ds_read2_b32 v[71:72], v47 offset0:91 offset1:182
	ds_read2_b32 v[73:74], v45 offset0:17 offset1:108
	ds_read2_b32 v[75:76], v70 offset0:71 offset1:162
	ds_read2_b32 v[77:78], v44 offset0:125 offset1:216
	ds_read2_b32 v[79:80], v43 offset0:51 offset1:142
	s_waitcnt lgkmcnt(4)
	v_lshrrev_b32_e32 v97, 16, v71
	s_waitcnt vmcnt(15)
	v_mul_f16_sdwa v98, v71, v81 dst_sel:DWORD dst_unused:UNUSED_PAD src0_sel:DWORD src1_sel:WORD_1
	v_lshrrev_b32_e32 v99, 16, v72
	s_waitcnt vmcnt(14)
	v_mul_f16_sdwa v100, v72, v82 dst_sel:DWORD dst_unused:UNUSED_PAD src0_sel:DWORD src1_sel:WORD_1
	s_waitcnt lgkmcnt(3)
	v_lshrrev_b32_e32 v101, 16, v73
	s_waitcnt vmcnt(13)
	v_mul_f16_sdwa v102, v73, v83 dst_sel:DWORD dst_unused:UNUSED_PAD src0_sel:DWORD src1_sel:WORD_1
	v_lshrrev_b32_e32 v103, 16, v74
	s_waitcnt vmcnt(12)
	v_mul_f16_sdwa v104, v74, v84 dst_sel:DWORD dst_unused:UNUSED_PAD src0_sel:DWORD src1_sel:WORD_1
	s_waitcnt lgkmcnt(2)
	v_lshrrev_b32_e32 v105, 16, v75
	s_waitcnt vmcnt(11)
	v_mul_f16_sdwa v106, v75, v85 dst_sel:DWORD dst_unused:UNUSED_PAD src0_sel:DWORD src1_sel:WORD_1
	v_lshrrev_b32_e32 v107, 16, v76
	v_mul_f16_sdwa v112, v97, v81 dst_sel:DWORD dst_unused:UNUSED_PAD src0_sel:DWORD src1_sel:WORD_1
	v_fma_f16 v97, v97, v81, v98
	v_mul_f16_sdwa v98, v99, v82 dst_sel:DWORD dst_unused:UNUSED_PAD src0_sel:DWORD src1_sel:WORD_1
	s_waitcnt vmcnt(10)
	v_mul_f16_sdwa v108, v76, v86 dst_sel:DWORD dst_unused:UNUSED_PAD src0_sel:DWORD src1_sel:WORD_1
	v_fma_f16 v99, v99, v82, v100
	v_mul_f16_sdwa v100, v101, v83 dst_sel:DWORD dst_unused:UNUSED_PAD src0_sel:DWORD src1_sel:WORD_1
	v_fma_f16 v101, v101, v83, v102
	;; [unrolled: 2-line block ×4, first 2 shown]
	v_mul_f16_sdwa v106, v107, v86 dst_sel:DWORD dst_unused:UNUSED_PAD src0_sel:DWORD src1_sel:WORD_1
	v_fma_f16 v71, v71, v81, -v112
	v_fma_f16 v72, v72, v82, -v98
	s_waitcnt lgkmcnt(1)
	v_lshrrev_b32_e32 v109, 16, v77
	s_waitcnt vmcnt(9)
	v_mul_f16_sdwa v110, v77, v87 dst_sel:DWORD dst_unused:UNUSED_PAD src0_sel:DWORD src1_sel:WORD_1
	v_lshrrev_b32_e32 v111, 16, v78
	v_fma_f16 v107, v107, v86, v108
	v_fma_f16 v73, v73, v83, -v100
	v_fma_f16 v74, v74, v84, -v102
	;; [unrolled: 1-line block ×4, first 2 shown]
	v_pack_b32_f16 v71, v71, v97
	v_pack_b32_f16 v72, v72, v99
	v_mul_f16_sdwa v108, v109, v87 dst_sel:DWORD dst_unused:UNUSED_PAD src0_sel:DWORD src1_sel:WORD_1
	v_fma_f16 v109, v109, v87, v110
	s_waitcnt vmcnt(8)
	v_mul_f16_sdwa v110, v111, v88 dst_sel:DWORD dst_unused:UNUSED_PAD src0_sel:DWORD src1_sel:WORD_1
	v_pack_b32_f16 v73, v73, v101
	v_pack_b32_f16 v74, v74, v103
	;; [unrolled: 1-line block ×4, first 2 shown]
	ds_write2_b32 v47, v71, v72 offset0:91 offset1:182
	ds_write2_b32 v45, v73, v74 offset0:17 offset1:108
	;; [unrolled: 1-line block ×3, first 2 shown]
	v_mul_f16_sdwa v45, v78, v88 dst_sel:DWORD dst_unused:UNUSED_PAD src0_sel:DWORD src1_sel:WORD_1
	v_fma_f16 v77, v77, v87, -v108
	v_fma_f16 v81, v78, v88, -v110
	v_fma_f16 v45, v111, v88, v45
	v_pack_b32_f16 v77, v77, v109
	v_pack_b32_f16 v45, v81, v45
	ds_write2_b32 v44, v77, v45 offset0:125 offset1:216
	s_waitcnt lgkmcnt(4)
	v_lshrrev_b32_e32 v44, 16, v79
	s_waitcnt vmcnt(7)
	v_mul_f16_sdwa v45, v44, v89 dst_sel:DWORD dst_unused:UNUSED_PAD src0_sel:DWORD src1_sel:WORD_1
	v_mul_f16_sdwa v70, v79, v89 dst_sel:DWORD dst_unused:UNUSED_PAD src0_sel:DWORD src1_sel:WORD_1
	v_fma_f16 v45, v79, v89, -v45
	v_fma_f16 v44, v44, v89, v70
	v_lshrrev_b32_e32 v71, 16, v80
	v_pack_b32_f16 v70, v45, v44
	s_waitcnt vmcnt(6)
	v_mul_f16_sdwa v44, v71, v90 dst_sel:DWORD dst_unused:UNUSED_PAD src0_sel:DWORD src1_sel:WORD_1
	v_fma_f16 v72, v80, v90, -v44
	ds_read2_b32 v[44:45], v46 offset0:105 offset1:196
	v_mul_f16_sdwa v73, v80, v90 dst_sel:DWORD dst_unused:UNUSED_PAD src0_sel:DWORD src1_sel:WORD_1
	v_fma_f16 v71, v71, v90, v73
	v_pack_b32_f16 v71, v72, v71
	ds_write2_b32 v43, v70, v71 offset0:51 offset1:142
	s_waitcnt lgkmcnt(1)
	v_lshrrev_b32_e32 v43, 16, v44
	s_waitcnt vmcnt(0)
	v_mul_f16_sdwa v70, v43, v96 dst_sel:DWORD dst_unused:UNUSED_PAD src0_sel:DWORD src1_sel:WORD_1
	v_fma_f16 v70, v44, v96, -v70
	v_mul_f16_sdwa v44, v44, v96 dst_sel:DWORD dst_unused:UNUSED_PAD src0_sel:DWORD src1_sel:WORD_1
	v_fma_f16 v43, v43, v96, v44
	v_lshrrev_b32_e32 v71, 16, v45
	v_pack_b32_f16 v70, v70, v43
	v_mul_f16_sdwa v43, v71, v92 dst_sel:DWORD dst_unused:UNUSED_PAD src0_sel:DWORD src1_sel:WORD_1
	v_fma_f16 v72, v45, v92, -v43
	ds_read2_b32 v[43:44], v42 offset0:159 offset1:250
	v_mul_f16_sdwa v45, v45, v92 dst_sel:DWORD dst_unused:UNUSED_PAD src0_sel:DWORD src1_sel:WORD_1
	v_fma_f16 v45, v71, v92, v45
	v_pack_b32_f16 v45, v72, v45
	ds_write2_b32 v46, v70, v45 offset0:105 offset1:196
	s_waitcnt lgkmcnt(1)
	v_lshrrev_b32_e32 v45, 16, v43
	v_mul_f16_sdwa v46, v45, v93 dst_sel:DWORD dst_unused:UNUSED_PAD src0_sel:DWORD src1_sel:WORD_1
	v_fma_f16 v46, v43, v93, -v46
	v_mul_f16_sdwa v43, v43, v93 dst_sel:DWORD dst_unused:UNUSED_PAD src0_sel:DWORD src1_sel:WORD_1
	v_lshrrev_b32_e32 v70, 16, v44
	v_fma_f16 v43, v45, v93, v43
	v_mul_f16_sdwa v45, v70, v94 dst_sel:DWORD dst_unused:UNUSED_PAD src0_sel:DWORD src1_sel:WORD_1
	v_pack_b32_f16 v43, v46, v43
	v_fma_f16 v71, v44, v94, -v45
	ds_read2_b32 v[45:46], v41 offset0:85 offset1:176
	v_mul_f16_sdwa v44, v44, v94 dst_sel:DWORD dst_unused:UNUSED_PAD src0_sel:DWORD src1_sel:WORD_1
	v_fma_f16 v44, v70, v94, v44
	v_pack_b32_f16 v44, v71, v44
	ds_write2_b32 v42, v43, v44 offset0:159 offset1:250
	s_waitcnt lgkmcnt(1)
	v_lshrrev_b32_e32 v42, 16, v45
	v_mul_f16_sdwa v43, v42, v95 dst_sel:DWORD dst_unused:UNUSED_PAD src0_sel:DWORD src1_sel:WORD_1
	v_mul_f16_sdwa v44, v45, v95 dst_sel:DWORD dst_unused:UNUSED_PAD src0_sel:DWORD src1_sel:WORD_1
	v_fma_f16 v43, v45, v95, -v43
	v_fma_f16 v42, v42, v95, v44
	v_pack_b32_f16 v42, v43, v42
	v_lshrrev_b32_e32 v43, 16, v46
	v_mul_f16_sdwa v44, v43, v91 dst_sel:DWORD dst_unused:UNUSED_PAD src0_sel:DWORD src1_sel:WORD_1
	v_mul_f16_sdwa v45, v46, v91 dst_sel:DWORD dst_unused:UNUSED_PAD src0_sel:DWORD src1_sel:WORD_1
	v_fma_f16 v44, v46, v91, -v44
	v_fma_f16 v43, v43, v91, v45
	v_pack_b32_f16 v43, v44, v43
	ds_write2_b32 v41, v42, v43 offset0:85 offset1:176
.LBB0_13:
	s_or_b64 exec, exec, s[4:5]
	s_waitcnt lgkmcnt(0)
	s_barrier
	s_and_saveexec_b64 s[4:5], s[0:1]
	s_cbranch_execz .LBB0_15
; %bb.14:
	v_add_u32_e32 v21, 0x200, v47
	ds_read2_b32 v[31:32], v21 offset0:54 offset1:145
	v_add_u32_e32 v21, 0x400, v47
	ds_read2_b32 v[33:34], v21 offset0:108 offset1:199
	v_add_u32_e32 v21, 0x800, v47
	ds_read2_b32 v[39:40], v21 offset0:34 offset1:125
	v_add_u32_e32 v21, 0xa00, v47
	ds_read2_b32 v[37:38], v21 offset0:88 offset1:179
	v_add_u32_e32 v21, 0xc00, v47
	ds_read2_b32 v[35:36], v21 offset0:142 offset1:233
	v_add_u32_e32 v21, 0x1000, v47
	ds_read2_b32 v[27:28], v21 offset0:68 offset1:159
	v_add_u32_e32 v21, 0x1200, v47
	ds_read2_b32 v[29:30], v47 offset1:91
	ds_read2_b32 v[21:22], v21 offset0:122 offset1:213
	ds_read_b32 v50, v47 offset:5824
	s_waitcnt lgkmcnt(8)
	v_lshrrev_b32_e32 v59, 16, v31
	v_lshrrev_b32_e32 v60, 16, v32
	s_waitcnt lgkmcnt(2)
	v_lshrrev_b32_e32 v58, 16, v30
	v_lshrrev_b32_e32 v61, 16, v33
	;; [unrolled: 1-line block ×11, first 2 shown]
	s_waitcnt lgkmcnt(1)
	v_lshrrev_b32_e32 v53, 16, v21
	v_lshrrev_b32_e32 v52, 16, v22
	s_waitcnt lgkmcnt(0)
	v_lshrrev_b32_e32 v51, 16, v50
.LBB0_15:
	s_or_b64 exec, exec, s[4:5]
	v_sub_f16_e32 v83, v58, v51
	v_add_f16_e32 v71, v50, v30
	v_add_f16_e32 v85, v51, v58
	s_movk_i32 s14, 0x2de8
	v_mul_f16_e32 v96, 0xbbf7, v83
	v_sub_f16_e32 v87, v59, v52
	v_sub_f16_e32 v74, v30, v50
	s_mov_b32 s17, 0xbbf7
	v_mul_f16_e32 v98, 0x2de8, v85
	v_fma_f16 v41, v71, s14, -v96
	s_mov_b32 s21, 0xbbdd
	v_add_f16_e32 v80, v22, v31
	v_add_f16_e32 v89, v52, v59
	v_mul_f16_e32 v104, 0xb1e1, v87
	v_add_f16_e32 v41, v41, v29
	v_fma_f16 v42, v74, s17, v98
	s_mov_b32 s15, 0xb461
	v_mul_f16_e32 v102, 0xbbb2, v83
	s_mov_b32 s23, 0xb1e1
	v_sub_f16_e32 v81, v31, v22
	v_mul_f16_e32 v108, 0xbbdd, v89
	v_fma_f16 v82, v80, s21, -v104
	v_add_f16_sdwa v42, v42, v29 dst_sel:DWORD dst_unused:UNUSED_PAD src0_sel:DWORD src1_sel:WORD_1
	s_mov_b32 s19, 0xbbb2
	v_mul_f16_e32 v105, 0xb461, v85
	v_fma_f16 v43, v71, s15, -v102
	s_mov_b32 s18, 0xbacd
	v_add_f16_e32 v41, v82, v41
	v_fma_f16 v82, v81, s23, v108
	v_mul_f16_e32 v112, 0x3836, v87
	v_add_f16_e32 v43, v43, v29
	v_fma_f16 v44, v74, s19, v105
	s_mov_b32 s16, 0xb8d2
	v_mul_f16_e32 v110, 0xba62, v83
	s_movk_i32 s24, 0x3836
	v_add_f16_e32 v42, v82, v42
	v_mul_f16_e32 v116, 0xbacd, v89
	v_fma_f16 v82, v80, s18, -v112
	v_add_f16_sdwa v44, v44, v29 dst_sel:DWORD dst_unused:UNUSED_PAD src0_sel:DWORD src1_sel:WORD_1
	s_mov_b32 s20, 0xba62
	v_mul_f16_e32 v113, 0xb8d2, v85
	v_fma_f16 v45, v71, s16, -v110
	v_add_f16_e32 v43, v82, v43
	v_fma_f16 v82, v81, s24, v116
	v_mul_f16_e32 v119, 0x3bb2, v87
	v_add_f16_e32 v45, v45, v29
	v_fma_f16 v46, v74, s20, v113
	v_add_f16_e32 v44, v82, v44
	s_movk_i32 s28, 0x3bb2
	v_mul_f16_e32 v123, 0xb461, v89
	v_fma_f16 v82, v80, s15, -v119
	v_add_f16_sdwa v46, v46, v29 dst_sel:DWORD dst_unused:UNUSED_PAD src0_sel:DWORD src1_sel:WORD_1
	v_mul_f16_e32 v70, 0xb836, v83
	v_add_f16_e32 v45, v82, v45
	v_fma_f16 v82, v81, s28, v123
	v_fma_f16 v72, v71, s18, v70
	v_add_f16_e32 v46, v82, v46
	v_mul_f16_e32 v82, 0x3b29, v87
	s_movk_i32 s25, 0x3722
	s_mov_b32 s22, 0xb836
	v_add_f16_e32 v72, v72, v29
	v_mul_f16_e32 v73, 0xbacd, v85
	v_fma_f16 v70, v71, s18, -v70
	v_fma_f16 v84, v80, s25, v82
	v_fma_f16 v75, v74, s24, v73
	v_add_f16_e32 v70, v70, v29
	v_fma_f16 v73, v74, s22, v73
	s_movk_i32 s31, 0x3b29
	v_add_f16_e32 v72, v84, v72
	v_mul_f16_e32 v84, 0x3722, v89
	v_fma_f16 v82, v80, s25, -v82
	v_add_f16_sdwa v73, v73, v29 dst_sel:DWORD dst_unused:UNUSED_PAD src0_sel:DWORD src1_sel:WORD_1
	v_mul_f16_e32 v76, 0xb1e1, v83
	v_add_f16_e32 v70, v82, v70
	v_fma_f16 v82, v81, s31, v84
	v_fma_f16 v77, v71, s21, v76
	s_mov_b32 s27, 0xbb29
	v_add_f16_e32 v73, v82, v73
	v_mul_f16_e32 v82, 0x35c8, v87
	s_movk_i32 s26, 0x3b76
	v_add_f16_e32 v77, v77, v29
	v_mul_f16_e32 v78, 0xbbdd, v85
	s_movk_i32 s33, 0x31e1
	v_fma_f16 v76, v71, s21, -v76
	v_fma_f16 v86, v81, s27, v84
	v_fma_f16 v84, v80, s26, v82
	;; [unrolled: 1-line block ×3, first 2 shown]
	v_add_f16_e32 v76, v76, v29
	v_fma_f16 v78, v74, s23, v78
	s_movk_i32 s34, 0x35c8
	v_add_f16_e32 v77, v84, v77
	v_mul_f16_e32 v84, 0x3b76, v89
	v_fma_f16 v82, v80, s26, -v82
	v_add_f16_sdwa v75, v75, v29 dst_sel:DWORD dst_unused:UNUSED_PAD src0_sel:DWORD src1_sel:WORD_1
	v_add_f16_sdwa v78, v78, v29 dst_sel:DWORD dst_unused:UNUSED_PAD src0_sel:DWORD src1_sel:WORD_1
	s_mov_b32 s30, 0xb5c8
	v_add_f16_e32 v76, v82, v76
	v_fma_f16 v82, v81, s34, v84
	v_sub_f16_e32 v92, v60, v53
	v_add_f16_sdwa v79, v79, v29 dst_sel:DWORD dst_unused:UNUSED_PAD src0_sel:DWORD src1_sel:WORD_1
	v_add_f16_e32 v75, v86, v75
	v_fma_f16 v86, v81, s30, v84
	v_add_f16_e32 v78, v82, v78
	v_add_f16_e32 v82, v21, v32
	;; [unrolled: 1-line block ×3, first 2 shown]
	v_mul_f16_e32 v114, 0x3bb2, v92
	v_add_f16_e32 v79, v86, v79
	v_sub_f16_e32 v84, v32, v21
	v_mul_f16_e32 v117, 0xb461, v94
	v_fma_f16 v86, v82, s15, -v114
	v_add_f16_e32 v41, v86, v41
	v_fma_f16 v86, v84, s28, v117
	s_movk_i32 s29, 0x39e9
	v_mul_f16_e32 v120, 0x3964, v92
	v_add_f16_e32 v42, v86, v42
	s_movk_i32 s35, 0x3964
	v_mul_f16_e32 v124, 0x39e9, v94
	v_fma_f16 v86, v82, s29, -v120
	v_add_f16_e32 v43, v86, v43
	v_fma_f16 v86, v84, s35, v124
	v_mul_f16_e32 v127, 0xb5c8, v92
	v_add_f16_e32 v44, v86, v44
	v_mul_f16_e32 v131, 0x3b76, v94
	v_fma_f16 v86, v82, s26, -v127
	v_add_f16_e32 v45, v86, v45
	v_fma_f16 v86, v84, s30, v131
	v_add_f16_e32 v46, v86, v46
	v_mul_f16_e32 v86, 0xbbf7, v92
	v_fma_f16 v88, v82, s14, v86
	v_add_f16_e32 v72, v88, v72
	v_mul_f16_e32 v88, 0x2de8, v94
	v_fma_f16 v86, v82, s14, -v86
	v_add_f16_e32 v70, v86, v70
	v_fma_f16 v86, v84, s17, v88
	s_movk_i32 s37, 0x3bf7
	v_add_f16_e32 v73, v86, v73
	v_mul_f16_e32 v86, 0xb836, v92
	v_fma_f16 v90, v84, s37, v88
	v_fma_f16 v88, v82, s18, v86
	v_add_f16_e32 v77, v88, v77
	v_mul_f16_e32 v88, 0xbacd, v94
	v_fma_f16 v86, v82, s18, -v86
	v_add_f16_e32 v76, v86, v76
	v_fma_f16 v86, v84, s22, v88
	v_sub_f16_e32 v97, v61, v57
	v_add_f16_e32 v75, v90, v75
	v_fma_f16 v90, v84, s24, v88
	v_add_f16_e32 v78, v86, v78
	v_add_f16_e32 v86, v28, v33
	;; [unrolled: 1-line block ×3, first 2 shown]
	v_mul_f16_e32 v121, 0x35c8, v97
	v_add_f16_e32 v79, v90, v79
	v_sub_f16_e32 v88, v33, v28
	v_mul_f16_e32 v125, 0x3b76, v100
	v_fma_f16 v90, v86, s26, -v121
	v_add_f16_e32 v41, v90, v41
	v_fma_f16 v90, v88, s34, v125
	v_mul_f16_e32 v128, 0xbb29, v97
	v_add_f16_e32 v42, v90, v42
	v_mul_f16_e32 v132, 0x3722, v100
	v_fma_f16 v90, v86, s25, -v128
	v_add_f16_e32 v43, v90, v43
	v_fma_f16 v90, v88, s27, v132
	v_mul_f16_e32 v134, 0xb836, v97
	v_add_f16_e32 v44, v90, v44
	v_mul_f16_e32 v137, 0xbacd, v100
	v_fma_f16 v90, v86, s18, -v134
	v_add_f16_e32 v45, v90, v45
	v_fma_f16 v90, v88, s22, v137
	v_add_f16_e32 v46, v90, v46
	v_mul_f16_e32 v90, 0x3a62, v97
	v_fma_f16 v91, v86, s16, v90
	s_movk_i32 s38, 0x3a62
	v_add_f16_e32 v72, v91, v72
	v_mul_f16_e32 v91, 0xb8d2, v100
	v_fma_f16 v90, v86, s16, -v90
	v_add_f16_e32 v70, v90, v70
	v_fma_f16 v90, v88, s38, v91
	v_add_f16_e32 v73, v90, v73
	v_mul_f16_e32 v90, 0x3964, v97
	v_fma_f16 v93, v88, s20, v91
	v_fma_f16 v91, v86, s29, v90
	v_add_f16_e32 v77, v91, v77
	v_mul_f16_e32 v91, 0x39e9, v100
	v_fma_f16 v90, v86, s29, -v90
	s_mov_b32 s36, 0xb964
	v_add_f16_e32 v76, v90, v76
	v_fma_f16 v90, v88, s35, v91
	v_sub_f16_e32 v103, v62, v64
	v_add_f16_e32 v75, v93, v75
	v_fma_f16 v93, v88, s36, v91
	v_add_f16_e32 v78, v90, v78
	v_add_f16_e32 v90, v27, v34
	;; [unrolled: 1-line block ×3, first 2 shown]
	v_mul_f16_e32 v130, 0xbb29, v103
	v_add_f16_e32 v79, v93, v79
	v_sub_f16_e32 v91, v34, v27
	v_mul_f16_e32 v133, 0x3722, v107
	v_fma_f16 v93, v90, s25, -v130
	v_add_f16_e32 v41, v93, v41
	v_fma_f16 v93, v91, s27, v133
	v_mul_f16_e32 v135, 0xb1e1, v103
	v_add_f16_e32 v42, v93, v42
	v_mul_f16_e32 v138, 0xbbdd, v107
	v_fma_f16 v93, v90, s21, -v135
	v_add_f16_e32 v43, v93, v43
	v_fma_f16 v93, v91, s23, v138
	v_mul_f16_e32 v140, 0x3bf7, v103
	v_add_f16_e32 v44, v93, v44
	v_mul_f16_e32 v143, 0x2de8, v107
	v_fma_f16 v93, v90, s14, -v140
	v_add_f16_e32 v45, v93, v45
	v_fma_f16 v93, v91, s37, v143
	v_add_f16_e32 v46, v93, v46
	v_mul_f16_e32 v93, 0xb5c8, v103
	v_fma_f16 v95, v90, s26, v93
	v_add_f16_e32 v72, v95, v72
	v_mul_f16_e32 v95, 0x3b76, v107
	v_fma_f16 v93, v90, s26, -v93
	v_add_f16_e32 v70, v93, v70
	v_fma_f16 v93, v91, s30, v95
	v_add_f16_e32 v73, v93, v73
	v_mul_f16_e32 v93, 0xba62, v103
	v_fma_f16 v99, v91, s34, v95
	v_fma_f16 v95, v90, s16, v93
	v_add_f16_e32 v77, v95, v77
	v_mul_f16_e32 v95, 0xb8d2, v107
	v_fma_f16 v93, v90, s16, -v93
	v_add_f16_e32 v76, v93, v76
	v_fma_f16 v93, v91, s20, v95
	v_sub_f16_e32 v111, v68, v65
	v_add_f16_e32 v75, v99, v75
	v_fma_f16 v99, v91, s38, v95
	v_add_f16_e32 v78, v93, v78
	v_add_f16_e32 v93, v36, v39
	;; [unrolled: 1-line block ×3, first 2 shown]
	v_mul_f16_e32 v136, 0xb836, v111
	v_add_f16_e32 v79, v99, v79
	v_sub_f16_e32 v95, v39, v36
	v_mul_f16_e32 v139, 0xbacd, v115
	v_fma_f16 v99, v93, s18, -v136
	v_add_f16_e32 v41, v99, v41
	v_fma_f16 v99, v95, s22, v139
	v_mul_f16_e32 v141, 0x3bf7, v111
	v_add_f16_e32 v42, v99, v42
	v_mul_f16_e32 v144, 0x2de8, v115
	v_fma_f16 v99, v93, s14, -v141
	v_add_f16_e32 v43, v99, v43
	v_fma_f16 v99, v95, s37, v144
	v_mul_f16_e32 v146, 0xb964, v111
	v_add_f16_e32 v44, v99, v44
	v_mul_f16_e32 v149, 0x39e9, v115
	v_fma_f16 v99, v93, s29, -v146
	v_add_f16_e32 v45, v99, v45
	v_fma_f16 v99, v95, s36, v149
	v_add_f16_e32 v46, v99, v46
	v_mul_f16_e32 v99, 0xb1e1, v111
	v_fma_f16 v101, v93, s21, v99
	v_add_f16_e32 v72, v101, v72
	v_mul_f16_e32 v101, 0xbbdd, v115
	v_fma_f16 v99, v93, s21, -v99
	v_add_f16_e32 v70, v99, v70
	v_fma_f16 v99, v95, s23, v101
	v_add_f16_e32 v73, v99, v73
	v_mul_f16_e32 v99, 0x3b29, v111
	v_fma_f16 v106, v95, s33, v101
	v_fma_f16 v101, v93, s25, v99
	v_add_f16_e32 v77, v101, v77
	v_mul_f16_e32 v101, 0x3722, v115
	v_fma_f16 v99, v93, s25, -v99
	v_add_f16_e32 v76, v99, v76
	v_fma_f16 v99, v95, s31, v101
	v_sub_f16_e32 v118, v69, v63
	v_add_f16_e32 v75, v106, v75
	v_fma_f16 v106, v95, s27, v101
	v_add_f16_e32 v78, v99, v78
	v_add_f16_e32 v99, v35, v40
	;; [unrolled: 1-line block ×3, first 2 shown]
	v_mul_f16_e32 v142, 0x3a62, v118
	v_add_f16_e32 v79, v106, v79
	v_sub_f16_e32 v101, v40, v35
	v_mul_f16_e32 v145, 0xb8d2, v122
	v_fma_f16 v106, v99, s16, -v142
	v_add_f16_e32 v41, v106, v41
	v_fma_f16 v106, v101, s38, v145
	v_mul_f16_e32 v147, 0xb5c8, v118
	v_add_f16_e32 v153, v106, v42
	v_mul_f16_e32 v150, 0x3b76, v122
	v_fma_f16 v42, v99, s26, -v147
	v_add_f16_e32 v43, v42, v43
	v_fma_f16 v42, v101, s30, v150
	v_mul_f16_e32 v152, 0xb1e1, v118
	v_add_f16_e32 v44, v42, v44
	v_mul_f16_e32 v154, 0xbbdd, v122
	v_fma_f16 v42, v99, s21, -v152
	v_add_f16_e32 v45, v42, v45
	v_fma_f16 v42, v101, s23, v154
	v_add_f16_e32 v46, v42, v46
	v_mul_f16_e32 v42, 0x3964, v118
	v_fma_f16 v106, v99, s29, v42
	v_add_f16_e32 v72, v106, v72
	v_mul_f16_e32 v106, 0x39e9, v122
	v_fma_f16 v42, v99, s29, -v42
	v_add_f16_e32 v159, v42, v70
	v_fma_f16 v42, v101, s35, v106
	v_add_f16_e32 v160, v42, v73
	v_mul_f16_e32 v42, 0xbbb2, v118
	v_fma_f16 v70, v99, s15, v42
	v_add_f16_e32 v161, v70, v77
	v_mul_f16_e32 v70, 0xb461, v122
	v_fma_f16 v42, v99, s15, -v42
	v_sub_f16_e32 v126, v67, v66
	v_fma_f16 v109, v101, s36, v106
	v_add_f16_e32 v162, v42, v76
	v_fma_f16 v42, v101, s19, v70
	v_add_f16_e32 v106, v38, v37
	v_add_f16_e32 v129, v66, v67
	v_mul_f16_e32 v148, 0x3964, v126
	v_add_f16_e32 v158, v109, v75
	v_add_f16_e32 v78, v42, v78
	v_sub_f16_e32 v109, v37, v38
	v_mul_f16_e32 v151, 0x39e9, v129
	v_fma_f16 v42, v106, s29, -v148
	v_add_f16_e32 v42, v42, v41
	v_fma_f16 v41, v109, s35, v151
	v_add_f16_e32 v75, v41, v153
	v_mul_f16_e32 v153, 0xba62, v126
	v_mul_f16_e32 v155, 0xb8d2, v129
	v_fma_f16 v41, v106, s16, -v153
	v_fma_f16 v73, v101, s28, v70
	v_add_f16_e32 v41, v41, v43
	v_fma_f16 v43, v109, s20, v155
	v_mul_f16_e32 v156, 0x3b29, v126
	v_add_f16_e32 v79, v73, v79
	v_add_f16_e32 v73, v43, v44
	v_mul_f16_e32 v157, 0x3722, v129
	v_fma_f16 v43, v106, s25, -v156
	v_add_f16_e32 v44, v43, v45
	v_fma_f16 v43, v109, s31, v157
	v_add_f16_e32 v76, v43, v46
	v_mul_f16_e32 v43, 0xbbb2, v126
	v_fma_f16 v45, v106, s15, v43
	v_add_f16_e32 v70, v45, v72
	v_mul_f16_e32 v45, 0xb461, v129
	v_fma_f16 v46, v109, s28, v45
	v_add_f16_e32 v72, v46, v158
	v_fma_f16 v43, v106, s15, -v43
	v_fma_f16 v45, v109, s19, v45
	v_mul_f16_e32 v46, 0x3bf7, v126
	v_mul_f16_e32 v158, 0x2de8, v129
	v_add_f16_e32 v43, v43, v159
	v_add_f16_e32 v77, v45, v160
	v_fma_f16 v45, v106, s14, v46
	v_fma_f16 v159, v109, s17, v158
	v_fma_f16 v46, v106, s14, -v46
	v_fma_f16 v158, v109, s37, v158
	v_add_f16_e32 v45, v45, v161
	v_add_f16_e32 v79, v159, v79
	;; [unrolled: 1-line block ×4, first 2 shown]
	s_barrier
	s_and_saveexec_b64 s[4:5], s[0:1]
	s_cbranch_execz .LBB0_17
; %bb.16:
	v_mul_f16_e32 v158, 0x2de8, v71
	v_mul_f16_e32 v159, 0xbbf7, v74
	;; [unrolled: 1-line block ×4, first 2 shown]
	v_add_f16_e32 v96, v158, v96
	v_mul_f16_e32 v165, 0xb1e1, v81
	v_mul_f16_e32 v166, 0xbacd, v80
	;; [unrolled: 1-line block ×3, first 2 shown]
	v_add_f16_e32 v102, v160, v102
	v_sub_f16_e32 v98, v98, v159
	v_add_f16_e32 v96, v96, v29
	v_add_f16_e32 v104, v164, v104
	v_mul_f16_e32 v171, 0x3bb2, v84
	v_mul_f16_e32 v172, 0x39e9, v82
	;; [unrolled: 1-line block ×3, first 2 shown]
	v_add_f16_e32 v102, v102, v29
	v_add_f16_e32 v112, v166, v112
	v_add_f16_sdwa v98, v98, v29 dst_sel:DWORD dst_unused:UNUSED_PAD src0_sel:DWORD src1_sel:WORD_1
	v_sub_f16_e32 v108, v108, v165
	v_add_f16_e32 v96, v104, v96
	v_add_f16_e32 v104, v170, v114
	v_mul_f16_e32 v161, 0xbbb2, v74
	v_mul_f16_e32 v177, 0x35c8, v88
	;; [unrolled: 1-line block ×4, first 2 shown]
	v_add_f16_e32 v102, v112, v102
	v_add_f16_e32 v112, v172, v120
	;; [unrolled: 1-line block ×3, first 2 shown]
	v_sub_f16_e32 v108, v117, v171
	v_add_f16_e32 v96, v104, v96
	v_add_f16_e32 v104, v176, v121
	v_mul_f16_e32 v167, 0x3836, v81
	v_mul_f16_e32 v183, 0xbb29, v91
	;; [unrolled: 1-line block ×4, first 2 shown]
	v_sub_f16_e32 v105, v105, v161
	v_add_f16_e32 v102, v112, v102
	v_add_f16_e32 v112, v178, v128
	v_add_f16_e32 v98, v108, v98
	v_sub_f16_e32 v108, v125, v177
	v_add_f16_e32 v96, v104, v96
	v_add_f16_e32 v104, v182, v130
	v_mul_f16_e32 v173, 0x3964, v84
	v_mul_f16_e32 v189, 0xb836, v95
	;; [unrolled: 1-line block ×4, first 2 shown]
	v_add_f16_sdwa v105, v105, v29 dst_sel:DWORD dst_unused:UNUSED_PAD src0_sel:DWORD src1_sel:WORD_1
	v_sub_f16_e32 v116, v116, v167
	v_add_f16_e32 v102, v112, v102
	v_add_f16_e32 v112, v184, v135
	v_add_f16_e32 v98, v108, v98
	v_sub_f16_e32 v108, v133, v183
	v_add_f16_e32 v96, v104, v96
	v_add_f16_e32 v104, v188, v136
	v_mul_f16_e32 v179, 0xbb29, v88
	v_mul_f16_e32 v195, 0x3a62, v101
	;; [unrolled: 1-line block ×4, first 2 shown]
	v_add_f16_e32 v105, v116, v105
	v_sub_f16_e32 v116, v124, v173
	v_add_f16_e32 v102, v112, v102
	v_add_f16_e32 v112, v190, v141
	;; [unrolled: 1-line block ×3, first 2 shown]
	v_sub_f16_e32 v108, v139, v189
	v_add_f16_e32 v96, v104, v96
	v_add_f16_e32 v104, v194, v142
	v_mul_f16_e32 v162, 0xb8d2, v71
	v_mul_f16_e32 v185, 0xb1e1, v91
	;; [unrolled: 1-line block ×4, first 2 shown]
	v_add_f16_e32 v105, v116, v105
	v_sub_f16_e32 v116, v132, v179
	v_add_f16_e32 v102, v112, v102
	v_add_f16_e32 v112, v196, v147
	;; [unrolled: 1-line block ×3, first 2 shown]
	v_sub_f16_e32 v108, v145, v195
	v_add_f16_e32 v96, v104, v96
	v_add_f16_e32 v104, v200, v148
	v_mul_f16_e32 v168, 0xb461, v80
	v_mul_f16_e32 v191, 0x3bf7, v95
	v_add_f16_e32 v110, v162, v110
	v_add_f16_e32 v105, v116, v105
	v_sub_f16_e32 v116, v138, v185
	v_add_f16_e32 v102, v112, v102
	v_add_f16_e32 v112, v202, v153
	v_add_f16_e32 v98, v108, v98
	v_sub_f16_e32 v108, v151, v201
	v_add_f16_e32 v96, v104, v96
	v_mul_f16_e32 v104, 0x3722, v85
	v_mul_f16_e32 v174, 0x3b76, v82
	;; [unrolled: 1-line block ×3, first 2 shown]
	v_add_f16_e32 v110, v110, v29
	v_add_f16_e32 v119, v168, v119
	;; [unrolled: 1-line block ×3, first 2 shown]
	v_sub_f16_e32 v116, v144, v191
	v_add_f16_e32 v102, v112, v102
	v_add_f16_e32 v98, v108, v98
	v_fma_f16 v108, v74, s31, v104
	v_mul_f16_e32 v112, 0xb8d2, v89
	v_mul_f16_e32 v180, 0xbacd, v86
	;; [unrolled: 1-line block ×3, first 2 shown]
	v_add_f16_e32 v110, v119, v110
	v_add_f16_e32 v119, v174, v127
	;; [unrolled: 1-line block ×3, first 2 shown]
	v_sub_f16_e32 v116, v150, v197
	v_add_f16_sdwa v108, v108, v29 dst_sel:DWORD dst_unused:UNUSED_PAD src0_sel:DWORD src1_sel:WORD_1
	v_fma_f16 v114, v81, s38, v112
	v_mul_f16_e32 v186, 0x2de8, v90
	v_add_f16_e32 v110, v119, v110
	v_add_f16_e32 v119, v180, v134
	;; [unrolled: 1-line block ×3, first 2 shown]
	v_sub_f16_e32 v116, v155, v203
	v_add_f16_e32 v108, v114, v108
	v_mul_f16_e32 v114, 0xbbdd, v94
	v_mul_f16_e32 v192, 0x39e9, v93
	v_add_f16_e32 v110, v119, v110
	v_add_f16_e32 v119, v186, v140
	;; [unrolled: 1-line block ×3, first 2 shown]
	v_fma_f16 v116, v84, s23, v114
	v_mul_f16_e32 v163, 0xba62, v74
	v_mul_f16_e32 v198, 0xbbdd, v99
	v_add_f16_e32 v110, v119, v110
	v_add_f16_e32 v119, v192, v146
	;; [unrolled: 1-line block ×3, first 2 shown]
	v_mul_f16_e32 v116, 0xb461, v100
	v_mul_f16_e32 v169, 0x3bb2, v81
	;; [unrolled: 1-line block ×3, first 2 shown]
	v_sub_f16_e32 v113, v113, v163
	v_add_f16_e32 v110, v119, v110
	v_add_f16_e32 v119, v198, v152
	v_fma_f16 v117, v88, s19, v116
	v_mul_f16_e32 v175, 0xb5c8, v84
	v_add_f16_sdwa v113, v113, v29 dst_sel:DWORD dst_unused:UNUSED_PAD src0_sel:DWORD src1_sel:WORD_1
	v_sub_f16_e32 v123, v123, v169
	v_add_f16_e32 v110, v119, v110
	v_add_f16_e32 v119, v204, v156
	;; [unrolled: 1-line block ×3, first 2 shown]
	v_mul_f16_e32 v117, 0x39e9, v107
	v_mul_f16_e32 v181, 0xb836, v88
	v_add_f16_e32 v113, v123, v113
	v_sub_f16_e32 v123, v131, v175
	v_add_f16_e32 v110, v119, v110
	v_fma_f16 v119, v91, s36, v117
	v_mul_f16_e32 v187, 0x3bf7, v91
	v_add_f16_e32 v113, v123, v113
	v_sub_f16_e32 v123, v137, v181
	v_add_f16_e32 v108, v119, v108
	v_mul_f16_e32 v119, 0x3b76, v115
	v_mul_f16_e32 v193, 0xb964, v95
	v_add_f16_e32 v113, v123, v113
	v_sub_f16_e32 v123, v143, v187
	v_fma_f16 v120, v95, s34, v119
	v_mul_f16_e32 v199, 0xb1e1, v101
	v_add_f16_e32 v113, v123, v113
	v_sub_f16_e32 v123, v149, v193
	v_add_f16_e32 v108, v120, v108
	v_mul_f16_e32 v120, 0x2de8, v122
	v_mul_f16_e32 v205, 0x3b29, v109
	v_add_f16_e32 v113, v123, v113
	v_sub_f16_e32 v123, v154, v199
	v_fma_f16 v121, v101, s37, v120
	v_add_f16_e32 v113, v123, v113
	v_sub_f16_e32 v123, v157, v205
	v_add_f16_e32 v108, v121, v108
	v_mul_f16_e32 v121, 0xbacd, v129
	v_add_f16_e32 v113, v123, v113
	v_fma_f16 v123, v109, s24, v121
	v_add_f16_e32 v108, v123, v108
	v_mul_f16_e32 v123, 0xbb29, v83
	v_fma_f16 v124, v71, s25, v123
	v_mul_f16_e32 v125, 0xba62, v87
	v_add_f16_e32 v124, v124, v29
	v_fma_f16 v127, v80, s16, v125
	v_add_f16_e32 v124, v127, v124
	v_mul_f16_e32 v127, 0x31e1, v92
	v_fma_f16 v128, v82, s21, v127
	v_add_f16_e32 v124, v128, v124
	v_mul_f16_e32 v128, 0x3bb2, v97
	;; [unrolled: 3-line block ×7, first 2 shown]
	v_fma_f16 v135, v74, s35, v134
	v_mul_f16_e32 v136, 0x2de8, v89
	v_add_f16_sdwa v135, v135, v29 dst_sel:DWORD dst_unused:UNUSED_PAD src0_sel:DWORD src1_sel:WORD_1
	v_fma_f16 v137, v81, s37, v136
	v_add_f16_e32 v135, v137, v135
	v_mul_f16_e32 v137, 0xb8d2, v94
	v_fma_f16 v138, v84, s38, v137
	v_add_f16_e32 v135, v138, v135
	v_mul_f16_e32 v138, 0xbbdd, v100
	;; [unrolled: 3-line block ×6, first 2 shown]
	v_fma_f16 v143, v109, s30, v142
	v_fma_f16 v104, v74, s27, v104
	v_add_f16_e32 v135, v143, v135
	v_mul_f16_e32 v143, 0xb964, v83
	v_add_f16_sdwa v104, v104, v29 dst_sel:DWORD dst_unused:UNUSED_PAD src0_sel:DWORD src1_sel:WORD_1
	v_fma_f16 v112, v81, s20, v112
	v_fma_f16 v144, v71, s29, v143
	v_mul_f16_e32 v145, 0xbbf7, v87
	v_add_f16_e32 v104, v112, v104
	v_fma_f16 v112, v84, s33, v114
	v_add_f16_e32 v144, v144, v29
	v_fma_f16 v146, v80, s14, v145
	;; [unrolled: 2-line block ×3, first 2 shown]
	v_add_f16_e32 v144, v146, v144
	v_mul_f16_e32 v146, 0xba62, v92
	v_add_f16_e32 v104, v112, v104
	v_fma_f16 v112, v91, s35, v117
	v_fma_f16 v147, v82, s16, v146
	v_add_f16_e32 v104, v112, v104
	v_fma_f16 v112, v95, s30, v119
	v_add_f16_e32 v144, v147, v144
	v_mul_f16_e32 v147, 0xb1e1, v97
	v_add_f16_e32 v104, v112, v104
	v_fma_f16 v112, v101, s17, v120
	v_fma_f16 v148, v86, s21, v147
	v_add_f16_e32 v104, v112, v104
	v_fma_f16 v112, v109, s22, v121
	v_add_f16_e32 v144, v148, v144
	v_mul_f16_e32 v148, 0x3836, v103
	v_add_f16_e32 v104, v112, v104
	v_fma_f16 v112, v71, s25, -v123
	v_fma_f16 v149, v90, s18, v148
	v_add_f16_e32 v112, v112, v29
	v_fma_f16 v114, v80, s16, -v125
	v_add_f16_e32 v144, v149, v144
	v_mul_f16_e32 v149, 0x3bb2, v111
	v_add_f16_e32 v112, v114, v112
	v_fma_f16 v114, v82, s21, -v127
	v_fma_f16 v150, v93, s15, v149
	v_add_f16_e32 v112, v114, v112
	v_fma_f16 v114, v86, s15, -v128
	;; [unrolled: 7-line block ×3, first 2 shown]
	v_add_f16_e32 v144, v151, v144
	v_mul_f16_e32 v151, 0x35c8, v126
	v_add_f16_e32 v112, v114, v112
	v_fma_f16 v114, v99, s14, -v132
	v_fma_f16 v152, v106, s26, v151
	v_mul_f16_e32 v85, 0x3b76, v85
	v_add_f16_e32 v112, v114, v112
	v_fma_f16 v114, v106, s18, -v133
	v_add_f16_e32 v144, v152, v144
	v_fma_f16 v152, v74, s34, v85
	v_mul_f16_e32 v89, 0x39e9, v89
	v_add_f16_e32 v112, v114, v112
	v_fma_f16 v114, v74, s36, v134
	v_add_f16_sdwa v152, v152, v29 dst_sel:DWORD dst_unused:UNUSED_PAD src0_sel:DWORD src1_sel:WORD_1
	v_fma_f16 v153, v81, s35, v89
	v_mul_f16_e32 v94, 0x3722, v94
	v_add_f16_sdwa v114, v114, v29 dst_sel:DWORD dst_unused:UNUSED_PAD src0_sel:DWORD src1_sel:WORD_1
	v_fma_f16 v116, v81, s17, v136
	v_add_f16_e32 v152, v153, v152
	v_fma_f16 v153, v84, s31, v94
	v_mul_f16_e32 v100, 0x2de8, v100
	v_add_f16_e32 v114, v116, v114
	v_fma_f16 v116, v84, s20, v137
	v_add_f16_e32 v152, v153, v152
	v_fma_f16 v153, v88, s37, v100
	v_mul_f16_e32 v107, 0xb461, v107
	v_add_f16_e32 v114, v116, v114
	;; [unrolled: 5-line block ×6, first 2 shown]
	v_fma_f16 v116, v109, s34, v142
	v_add_f16_e32 v152, v153, v152
	v_fma_f16 v153, v71, s26, v83
	v_add_f16_e32 v114, v116, v114
	v_fma_f16 v116, v71, s29, -v143
	v_fma_f16 v74, v74, s30, v85
	v_fma_f16 v71, v71, s26, -v83
	v_add_f16_e32 v153, v153, v29
	v_add_f16_e32 v116, v116, v29
	v_add_f16_sdwa v74, v74, v29 dst_sel:DWORD dst_unused:UNUSED_PAD src0_sel:DWORD src1_sel:WORD_1
	v_add_f16_e32 v71, v71, v29
	v_add_f16_sdwa v58, v58, v29 dst_sel:DWORD dst_unused:UNUSED_PAD src0_sel:DWORD src1_sel:WORD_1
	v_add_f16_e32 v29, v30, v29
	v_add_f16_e32 v58, v59, v58
	;; [unrolled: 1-line block ×15, first 2 shown]
	v_mul_f16_e32 v87, 0xb964, v87
	v_add_f16_e32 v58, v66, v58
	v_add_f16_e32 v29, v38, v29
	v_fma_f16 v154, v80, s29, v87
	v_mul_f16_e32 v92, 0xbb29, v92
	v_add_f16_e32 v58, v63, v58
	v_add_f16_e32 v29, v35, v29
	v_add_f16_e32 v153, v154, v153
	v_fma_f16 v154, v82, s25, v92
	v_mul_f16_e32 v97, 0xbbf7, v97
	v_add_f16_e32 v58, v65, v58
	v_add_f16_e32 v29, v36, v29
	v_add_f16_e32 v153, v154, v153
	v_fma_f16 v154, v86, s14, v97
	v_mul_f16_e32 v103, 0xbbb2, v103
	v_add_f16_e32 v58, v64, v58
	v_add_f16_e32 v27, v27, v29
	v_add_f16_e32 v153, v154, v153
	v_fma_f16 v154, v90, s15, v103
	v_mul_f16_e32 v111, 0xba62, v111
	v_add_f16_e32 v57, v57, v58
	v_add_f16_e32 v27, v28, v27
	v_add_f16_e32 v153, v154, v153
	v_fma_f16 v154, v93, s16, v111
	v_mul_f16_e32 v118, 0xb836, v118
	v_add_f16_e32 v53, v53, v57
	v_add_f16_e32 v21, v21, v27
	v_add_f16_e32 v153, v154, v153
	v_fma_f16 v154, v99, s18, v118
	v_mul_f16_e32 v126, 0xb1e1, v126
	v_add_f16_e32 v52, v52, v53
	v_add_f16_e32 v21, v22, v21
	v_add_f16_e32 v153, v154, v153
	v_fma_f16 v154, v106, s21, v126
	v_add_f16_sdwa v51, v51, v52 dst_sel:WORD_1 dst_unused:UNUSED_PAD src0_sel:DWORD src1_sel:DWORD
	v_add_f16_e32 v21, v50, v21
	v_add_f16_e32 v153, v154, v153
	v_fma_f16 v117, v80, s14, -v145
	v_fma_f16 v81, v81, s36, v89
	v_fma_f16 v80, v80, s29, -v87
	v_or_b32_e32 v21, v51, v21
	v_lshlrev_b32_e32 v22, 2, v49
	v_add_f16_e32 v116, v117, v116
	v_fma_f16 v117, v82, s16, -v146
	v_add_f16_e32 v74, v81, v74
	v_fma_f16 v81, v84, s27, v94
	v_add_f16_e32 v71, v80, v71
	v_fma_f16 v80, v82, s25, -v92
	ds_write_b32 v22, v21
	v_pack_b32_f16 v21, v144, v135
	v_pack_b32_f16 v27, v153, v152
	v_add_f16_e32 v116, v117, v116
	v_fma_f16 v117, v86, s21, -v147
	v_add_f16_e32 v74, v81, v74
	v_fma_f16 v81, v88, s17, v100
	v_add_f16_e32 v71, v80, v71
	v_fma_f16 v80, v86, s14, -v97
	ds_write2_b32 v22, v27, v21 offset0:1 offset1:2
	v_pack_b32_f16 v21, v96, v98
	v_pack_b32_f16 v27, v124, v108
	v_add_f16_e32 v116, v117, v116
	v_fma_f16 v117, v90, s18, -v148
	v_add_f16_e32 v74, v81, v74
	v_fma_f16 v81, v91, s19, v107
	v_add_f16_e32 v71, v80, v71
	v_fma_f16 v80, v90, s15, -v103
	ds_write2_b32 v22, v27, v21 offset0:3 offset1:4
	v_pack_b32_f16 v21, v110, v113
	v_pack_b32_f16 v27, v102, v105
	s_mov_b32 s14, 0x5040100
	v_add_f16_e32 v116, v117, v116
	v_fma_f16 v117, v93, s15, -v149
	v_add_f16_e32 v74, v81, v74
	v_fma_f16 v81, v95, s20, v115
	v_add_f16_e32 v71, v80, v71
	v_fma_f16 v80, v93, s16, -v111
	ds_write2_b32 v22, v27, v21 offset0:5 offset1:6
	v_perm_b32 v21, v79, v45, s14
	v_perm_b32 v27, v72, v70, s14
	v_add_f16_e32 v116, v117, v116
	v_fma_f16 v117, v99, s25, -v150
	v_add_f16_e32 v74, v81, v74
	v_fma_f16 v81, v101, s22, v122
	v_add_f16_e32 v71, v80, v71
	v_fma_f16 v80, v99, s18, -v118
	ds_write2_b32 v22, v27, v21 offset0:7 offset1:8
	v_perm_b32 v21, v77, v43, s14
	v_perm_b32 v27, v78, v46, s14
	;; [unrolled: 9-line block ×3, first 2 shown]
	v_add_f16_e32 v116, v117, v116
	v_add_f16_e32 v74, v81, v74
	;; [unrolled: 1-line block ×3, first 2 shown]
	ds_write2_b32 v22, v27, v21 offset0:11 offset1:12
	v_pack_b32_f16 v21, v112, v104
	v_perm_b32 v27, v75, v42, s14
	ds_write2_b32 v22, v27, v21 offset0:13 offset1:14
	v_pack_b32_f16 v21, v71, v74
	v_pack_b32_f16 v27, v116, v114
	ds_write2_b32 v22, v27, v21 offset0:15 offset1:16
.LBB0_17:
	s_or_b64 exec, exec, s[4:5]
	v_add_u32_e32 v27, 0x680, v47
	s_waitcnt lgkmcnt(0)
	s_barrier
	ds_read2_b32 v[29:30], v27 offset0:26 offset1:247
	v_add_u32_e32 v27, 0xd80, v47
	ds_read2_b32 v[21:22], v47 offset1:221
	ds_read2_b32 v[27:28], v27 offset0:20 offset1:241
	ds_read_b32 v31, v47 offset:5304
	s_and_saveexec_b64 s[4:5], s[2:3]
	s_cbranch_execz .LBB0_19
; %bb.18:
	v_add_u32_e32 v32, 0x500, v47
	ds_read_b32 v70, v47 offset:476
	v_add_u32_e32 v33, 0xc00, v47
	ds_read2_b32 v[45:46], v32 offset0:20 offset1:241
	ds_read2_b32 v[43:44], v33 offset0:14 offset1:235
	v_add_u32_e32 v32, 0x1300, v47
	ds_read2_b32 v[41:42], v32 offset0:8 offset1:229
	s_waitcnt lgkmcnt(3)
	v_lshrrev_b32_e32 v72, 16, v70
	s_waitcnt lgkmcnt(2)
	v_lshrrev_b32_e32 v79, 16, v45
	v_lshrrev_b32_e32 v78, 16, v46
	s_waitcnt lgkmcnt(1)
	v_lshrrev_b32_e32 v77, 16, v43
	;; [unrolled: 3-line block ×3, first 2 shown]
	v_lshrrev_b32_e32 v75, 16, v42
.LBB0_19:
	s_or_b64 exec, exec, s[4:5]
	s_waitcnt lgkmcnt(2)
	v_lshrrev_b32_e32 v32, 16, v22
	v_mul_f16_sdwa v38, v4, v32 dst_sel:DWORD dst_unused:UNUSED_PAD src0_sel:WORD_1 src1_sel:DWORD
	v_lshrrev_b32_e32 v33, 16, v29
	v_fma_f16 v38, v4, v22, v38
	v_mul_f16_sdwa v22, v4, v22 dst_sel:DWORD dst_unused:UNUSED_PAD src0_sel:WORD_1 src1_sel:DWORD
	v_fma_f16 v4, v4, v32, -v22
	v_mul_f16_sdwa v22, v5, v33 dst_sel:DWORD dst_unused:UNUSED_PAD src0_sel:WORD_1 src1_sel:DWORD
	v_lshrrev_b32_e32 v34, 16, v30
	v_fma_f16 v22, v5, v29, v22
	v_mul_f16_sdwa v29, v5, v29 dst_sel:DWORD dst_unused:UNUSED_PAD src0_sel:WORD_1 src1_sel:DWORD
	v_fma_f16 v5, v5, v33, -v29
	v_mul_f16_sdwa v29, v6, v34 dst_sel:DWORD dst_unused:UNUSED_PAD src0_sel:WORD_1 src1_sel:DWORD
	s_waitcnt lgkmcnt(1)
	v_lshrrev_b32_e32 v35, 16, v27
	v_fma_f16 v29, v6, v30, v29
	v_mul_f16_sdwa v30, v6, v30 dst_sel:DWORD dst_unused:UNUSED_PAD src0_sel:WORD_1 src1_sel:DWORD
	v_fma_f16 v6, v6, v34, -v30
	v_mul_f16_sdwa v30, v7, v35 dst_sel:DWORD dst_unused:UNUSED_PAD src0_sel:WORD_1 src1_sel:DWORD
	v_lshrrev_b32_e32 v36, 16, v28
	v_fma_f16 v30, v7, v27, v30
	v_mul_f16_sdwa v27, v7, v27 dst_sel:DWORD dst_unused:UNUSED_PAD src0_sel:WORD_1 src1_sel:DWORD
	v_fma_f16 v7, v7, v35, -v27
	v_mul_f16_sdwa v27, v25, v36 dst_sel:DWORD dst_unused:UNUSED_PAD src0_sel:WORD_1 src1_sel:DWORD
	s_waitcnt lgkmcnt(0)
	v_lshrrev_b32_e32 v37, 16, v31
	v_fma_f16 v27, v25, v28, v27
	v_mul_f16_sdwa v28, v25, v28 dst_sel:DWORD dst_unused:UNUSED_PAD src0_sel:WORD_1 src1_sel:DWORD
	v_fma_f16 v25, v25, v36, -v28
	v_mul_f16_sdwa v28, v26, v37 dst_sel:DWORD dst_unused:UNUSED_PAD src0_sel:WORD_1 src1_sel:DWORD
	v_fma_f16 v28, v26, v31, v28
	v_mul_f16_sdwa v31, v26, v31 dst_sel:DWORD dst_unused:UNUSED_PAD src0_sel:WORD_1 src1_sel:DWORD
	v_fma_f16 v26, v26, v37, -v31
	v_add_f16_e32 v31, v38, v28
	v_add_f16_e32 v32, v4, v26
	v_sub_f16_e32 v4, v4, v26
	v_add_f16_e32 v26, v22, v27
	v_add_f16_e32 v33, v5, v25
	v_sub_f16_e32 v22, v22, v27
	v_sub_f16_e32 v5, v5, v25
	v_add_f16_e32 v25, v29, v30
	v_add_f16_e32 v27, v6, v7
	v_sub_f16_e32 v29, v30, v29
	;; [unrolled: 4-line block ×3, first 2 shown]
	v_sub_f16_e32 v34, v26, v31
	v_sub_f16_e32 v31, v31, v25
	;; [unrolled: 1-line block ×3, first 2 shown]
	v_add_f16_e32 v36, v29, v22
	v_add_f16_e32 v7, v25, v7
	;; [unrolled: 1-line block ×3, first 2 shown]
	v_sub_f16_e32 v35, v33, v32
	v_sub_f16_e32 v32, v32, v27
	;; [unrolled: 1-line block ×3, first 2 shown]
	v_add_f16_e32 v37, v6, v5
	v_sub_f16_e32 v38, v29, v22
	v_sub_f16_e32 v39, v6, v5
	;; [unrolled: 1-line block ×5, first 2 shown]
	v_add_f16_e32 v27, v36, v28
	v_add_f16_e32 v28, v7, v21
	v_add_f16_sdwa v21, v25, v21 dst_sel:DWORD dst_unused:UNUSED_PAD src0_sel:DWORD src1_sel:WORD_1
	v_sub_f16_e32 v6, v4, v6
	v_add_f16_e32 v4, v37, v4
	v_lshlrev_b32_e32 v30, 16, v21
	v_mul_f16_e32 v31, 0x3a52, v31
	v_mul_f16_e32 v32, 0x3a52, v32
	s_movk_i32 s19, 0x2b26
	v_mul_f16_e32 v36, 0x2b26, v26
	v_mul_f16_e32 v37, 0x2b26, v33
	;; [unrolled: 1-line block ×4, first 2 shown]
	s_mov_b32 s14, 0xbb00
	v_mul_f16_e32 v40, 0xbb00, v22
	v_mul_f16_e32 v49, 0xbb00, v5
	s_mov_b32 s20, 0xbcab
	s_movk_i32 s15, 0x39e0
	s_mov_b32 s16, 0xb9e0
	s_mov_b32 s21, 0xb574
	s_movk_i32 s17, 0x3574
	v_or_b32_e32 v30, v30, v28
	v_fma_f16 v7, v7, s20, v28
	v_fma_f16 v21, v25, s20, v21
	;; [unrolled: 1-line block ×4, first 2 shown]
	v_fma_f16 v28, v34, s15, -v36
	v_fma_f16 v33, v35, s15, -v37
	v_fma_f16 v31, v34, s16, -v31
	v_fma_f16 v32, v35, s16, -v32
	v_fma_f16 v34, v29, s21, v38
	v_fma_f16 v35, v6, s21, v39
	v_fma_f16 v22, v22, s14, -v38
	v_fma_f16 v5, v5, s14, -v39
	;; [unrolled: 1-line block ×4, first 2 shown]
	s_mov_b32 s18, 0xb70e
	v_add_f16_e32 v25, v25, v7
	v_add_f16_e32 v26, v26, v21
	;; [unrolled: 1-line block ×6, first 2 shown]
	v_fma_f16 v31, v27, s18, v34
	v_fma_f16 v32, v4, s18, v35
	;; [unrolled: 1-line block ×6, first 2 shown]
	v_add_f16_e32 v6, v32, v25
	v_sub_f16_e32 v29, v26, v31
	v_add_f16_e32 v34, v4, v7
	v_sub_f16_e32 v36, v28, v5
	v_add_f16_e32 v37, v22, v33
	v_add_f16_e32 v5, v5, v28
	v_sub_f16_e32 v22, v33, v22
	v_sub_f16_e32 v4, v7, v4
	v_add_f16_e32 v7, v27, v21
	v_sub_f16_e32 v35, v21, v27
	v_sub_f16_e32 v21, v25, v32
	v_add_f16_e32 v25, v31, v26
	v_pack_b32_f16 v6, v6, v29
	v_pack_b32_f16 v5, v5, v22
	;; [unrolled: 1-line block ×3, first 2 shown]
	s_barrier
	ds_write2_b32 v56, v30, v6 offset1:17
	v_pack_b32_f16 v6, v34, v35
	v_pack_b32_f16 v26, v36, v37
	ds_write2_b32 v56, v5, v4 offset0:68 offset1:85
	v_pack_b32_f16 v4, v21, v25
	ds_write2_b32 v56, v6, v26 offset0:34 offset1:51
	ds_write_b32 v56, v4 offset:408
	s_and_saveexec_b64 s[4:5], s[2:3]
	s_cbranch_execz .LBB0_21
; %bb.20:
	v_mul_f16_sdwa v5, v24, v75 dst_sel:DWORD dst_unused:UNUSED_PAD src0_sel:WORD_1 src1_sel:DWORD
	v_mul_f16_sdwa v21, v2, v77 dst_sel:DWORD dst_unused:UNUSED_PAD src0_sel:WORD_1 src1_sel:DWORD
	;; [unrolled: 1-line block ×7, first 2 shown]
	v_fma_f16 v5, v24, v42, v5
	v_mul_f16_sdwa v7, v3, v76 dst_sel:DWORD dst_unused:UNUSED_PAD src0_sel:WORD_1 src1_sel:DWORD
	v_fma_f16 v21, v2, v43, v21
	v_mul_f16_sdwa v26, v1, v78 dst_sel:DWORD dst_unused:UNUSED_PAD src0_sel:WORD_1 src1_sel:DWORD
	v_fma_f16 v27, v23, v41, v27
	v_fma_f16 v24, v24, v75, -v31
	v_mul_f16_sdwa v31, v0, v45 dst_sel:DWORD dst_unused:UNUSED_PAD src0_sel:WORD_1 src1_sel:DWORD
	v_fma_f16 v2, v2, v77, -v32
	v_mul_f16_sdwa v32, v3, v44 dst_sel:DWORD dst_unused:UNUSED_PAD src0_sel:WORD_1 src1_sel:DWORD
	;; [unrolled: 2-line block ×3, first 2 shown]
	v_fma_f16 v4, v0, v45, v4
	v_fma_f16 v7, v3, v44, v7
	;; [unrolled: 1-line block ×3, first 2 shown]
	v_fma_f16 v0, v0, v79, -v31
	v_fma_f16 v3, v3, v76, -v32
	;; [unrolled: 1-line block ×3, first 2 shown]
	v_sub_f16_e32 v6, v4, v5
	v_sub_f16_e32 v22, v7, v21
	;; [unrolled: 1-line block ×3, first 2 shown]
	v_add_f16_e32 v31, v24, v0
	v_add_f16_e32 v32, v2, v3
	;; [unrolled: 1-line block ×3, first 2 shown]
	v_sub_f16_e32 v0, v0, v24
	v_sub_f16_e32 v2, v3, v2
	;; [unrolled: 1-line block ×5, first 2 shown]
	v_add_f16_e32 v22, v22, v28
	v_add_f16_e32 v4, v5, v4
	;; [unrolled: 1-line block ×4, first 2 shown]
	v_sub_f16_e32 v3, v0, v2
	v_sub_f16_e32 v23, v2, v1
	v_add_f16_e32 v2, v2, v1
	v_add_f16_e32 v22, v22, v6
	;; [unrolled: 1-line block ×5, first 2 shown]
	v_sub_f16_e32 v6, v28, v6
	v_sub_f16_e32 v0, v1, v0
	v_mul_f16_e32 v29, 0x3846, v29
	v_sub_f16_e32 v33, v31, v32
	v_sub_f16_e32 v35, v32, v34
	v_add_f16_e32 v32, v32, v37
	v_sub_f16_e32 v7, v4, v5
	v_sub_f16_e32 v26, v5, v21
	v_add_f16_e32 v5, v5, v39
	v_mul_f16_e32 v23, 0x3846, v23
	v_mul_f16_e32 v28, 0xbb00, v6
	;; [unrolled: 1-line block ×3, first 2 shown]
	v_fma_f16 v30, v25, s21, v29
	v_mul_f16_e32 v33, 0x3a52, v33
	v_mul_f16_e32 v36, 0x2b26, v35
	v_add_f16_e32 v37, v72, v32
	v_mul_f16_e32 v7, 0x3a52, v7
	v_mul_f16_e32 v27, 0x2b26, v26
	v_add_f16_e32 v39, v70, v5
	v_fma_f16 v24, v3, s21, v23
	v_fma_f16 v25, v25, s17, -v28
	v_sub_f16_e32 v28, v34, v31
	v_sub_f16_e32 v4, v21, v4
	v_fma_f16 v1, v3, s17, -v1
	v_fma_f16 v0, v0, s14, -v23
	v_fma_f16 v32, v32, s20, v37
	v_fma_f16 v26, v26, s19, v7
	;; [unrolled: 1-line block ×4, first 2 shown]
	v_fma_f16 v31, v28, s16, -v33
	v_fma_f16 v7, v4, s16, -v7
	v_fma_f16 v1, v2, s18, v1
	v_fma_f16 v21, v28, s15, -v36
	v_fma_f16 v6, v6, s14, -v29
	v_fma_f16 v0, v2, s18, v0
	v_fma_f16 v2, v4, s15, -v27
	v_fma_f16 v25, v22, s18, v25
	v_add_f16_e32 v31, v31, v32
	v_add_f16_e32 v7, v7, v5
	;; [unrolled: 1-line block ×3, first 2 shown]
	v_fma_f16 v6, v22, s18, v6
	v_add_f16_e32 v2, v2, v5
	v_fma_f16 v30, v22, s18, v30
	v_fma_f16 v35, v35, s19, v33
	v_add_f16_e32 v26, v26, v5
	v_sub_f16_e32 v3, v7, v1
	v_sub_f16_e32 v22, v21, v6
	v_add_f16_e32 v4, v0, v2
	v_add_f16_e32 v5, v6, v21
	v_sub_f16_e32 v0, v2, v0
	v_sub_f16_e32 v2, v31, v25
	v_add_f16_e32 v1, v1, v7
	v_mul_u32_u24_e32 v21, 0x77, v54
	v_add_f16_e32 v35, v35, v32
	v_add_f16_e32 v33, v25, v31
	v_add_lshl_u32 v21, v21, v55, 2
	v_pack_b32_f16 v1, v1, v2
	v_pack_b32_f16 v0, v0, v5
	v_add_f16_e32 v38, v30, v35
	v_sub_f16_e32 v40, v26, v24
	v_sub_f16_e32 v6, v35, v30
	v_add_f16_e32 v7, v24, v26
	ds_write2_b32 v21, v1, v0 offset0:34 offset1:51
	v_pack_b32_f16 v0, v4, v22
	v_pack_b32_f16 v1, v3, v33
	;; [unrolled: 1-line block ×4, first 2 shown]
	ds_write2_b32 v21, v0, v1 offset0:68 offset1:85
	v_pack_b32_f16 v0, v40, v38
	ds_write2_b32 v21, v23, v6 offset1:17
	ds_write_b32 v21, v0 offset:408
.LBB0_21:
	s_or_b64 exec, exec, s[4:5]
	s_waitcnt lgkmcnt(0)
	s_barrier
	ds_read2_b32 v[21:22], v47 offset0:119 offset1:238
	ds_read_b32 v1, v47
	v_add_u32_e32 v6, 0x400, v47
	ds_read2_b32 v[23:24], v6 offset0:101 offset1:220
	v_add_u32_e32 v5, 0x800, v47
	s_waitcnt lgkmcnt(2)
	v_lshrrev_b32_e32 v3, 16, v21
	ds_read2_b32 v[25:26], v5 offset0:83 offset1:202
	v_add_u32_e32 v0, 0xc00, v47
	v_mul_f16_sdwa v43, v8, v3 dst_sel:DWORD dst_unused:UNUSED_PAD src0_sel:WORD_1 src1_sel:DWORD
	v_lshrrev_b32_e32 v7, 16, v22
	ds_read2_b32 v[27:28], v0 offset0:65 offset1:184
	v_fma_f16 v43, v8, v21, v43
	v_mul_f16_sdwa v21, v8, v21 dst_sel:DWORD dst_unused:UNUSED_PAD src0_sel:WORD_1 src1_sel:DWORD
	s_waitcnt lgkmcnt(2)
	v_lshrrev_b32_e32 v33, 16, v23
	v_add_u32_e32 v4, 0x1000, v47
	v_fma_f16 v3, v8, v3, -v21
	v_mul_f16_sdwa v8, v9, v7 dst_sel:DWORD dst_unused:UNUSED_PAD src0_sel:WORD_1 src1_sel:DWORD
	v_mul_f16_sdwa v21, v9, v22 dst_sel:DWORD dst_unused:UNUSED_PAD src0_sel:WORD_1 src1_sel:DWORD
	v_lshrrev_b32_e32 v34, 16, v24
	ds_read2_b32 v[29:30], v4 offset0:47 offset1:166
	v_fma_f16 v8, v9, v22, v8
	v_fma_f16 v7, v9, v7, -v21
	v_mul_f16_sdwa v9, v10, v33 dst_sel:DWORD dst_unused:UNUSED_PAD src0_sel:WORD_1 src1_sel:DWORD
	v_mul_f16_sdwa v21, v10, v23 dst_sel:DWORD dst_unused:UNUSED_PAD src0_sel:WORD_1 src1_sel:DWORD
	s_waitcnt lgkmcnt(2)
	v_lshrrev_b32_e32 v35, 16, v25
	v_add_u32_e32 v2, 0x1400, v47
	v_fma_f16 v9, v10, v23, v9
	v_fma_f16 v10, v10, v33, -v21
	v_mul_f16_sdwa v21, v11, v34 dst_sel:DWORD dst_unused:UNUSED_PAD src0_sel:WORD_1 src1_sel:DWORD
	v_mul_f16_sdwa v22, v11, v24 dst_sel:DWORD dst_unused:UNUSED_PAD src0_sel:WORD_1 src1_sel:DWORD
	v_lshrrev_b32_e32 v36, 16, v26
	ds_read2_b32 v[31:32], v2 offset0:29 offset1:148
	v_fma_f16 v21, v11, v24, v21
	v_fma_f16 v11, v11, v34, -v22
	v_mul_f16_sdwa v22, v12, v35 dst_sel:DWORD dst_unused:UNUSED_PAD src0_sel:WORD_1 src1_sel:DWORD
	v_mul_f16_sdwa v23, v12, v25 dst_sel:DWORD dst_unused:UNUSED_PAD src0_sel:WORD_1 src1_sel:DWORD
	s_waitcnt lgkmcnt(2)
	v_lshrrev_b32_e32 v37, 16, v27
	v_fma_f16 v22, v12, v25, v22
	v_fma_f16 v12, v12, v35, -v23
	v_mul_f16_sdwa v23, v13, v36 dst_sel:DWORD dst_unused:UNUSED_PAD src0_sel:WORD_1 src1_sel:DWORD
	v_mul_f16_sdwa v24, v13, v26 dst_sel:DWORD dst_unused:UNUSED_PAD src0_sel:WORD_1 src1_sel:DWORD
	v_lshrrev_b32_e32 v38, 16, v28
	v_fma_f16 v23, v13, v26, v23
	v_fma_f16 v13, v13, v36, -v24
	v_mul_f16_sdwa v24, v14, v37 dst_sel:DWORD dst_unused:UNUSED_PAD src0_sel:WORD_1 src1_sel:DWORD
	v_mul_f16_sdwa v25, v14, v27 dst_sel:DWORD dst_unused:UNUSED_PAD src0_sel:WORD_1 src1_sel:DWORD
	s_waitcnt lgkmcnt(1)
	v_lshrrev_b32_e32 v39, 16, v29
	v_fma_f16 v24, v14, v27, v24
	v_fma_f16 v14, v14, v37, -v25
	v_mul_f16_sdwa v25, v15, v38 dst_sel:DWORD dst_unused:UNUSED_PAD src0_sel:WORD_1 src1_sel:DWORD
	v_mul_f16_sdwa v26, v15, v28 dst_sel:DWORD dst_unused:UNUSED_PAD src0_sel:WORD_1 src1_sel:DWORD
	v_lshrrev_b32_e32 v40, 16, v30
	;; [unrolled: 11-line block ×3, first 2 shown]
	v_fma_f16 v27, v17, v30, v27
	v_fma_f16 v17, v17, v40, -v28
	v_mul_f16_sdwa v28, v18, v41 dst_sel:DWORD dst_unused:UNUSED_PAD src0_sel:WORD_1 src1_sel:DWORD
	v_mul_f16_sdwa v29, v18, v31 dst_sel:DWORD dst_unused:UNUSED_PAD src0_sel:WORD_1 src1_sel:DWORD
	v_fma_f16 v28, v18, v31, v28
	v_fma_f16 v18, v18, v41, -v29
	v_mul_f16_sdwa v29, v19, v42 dst_sel:DWORD dst_unused:UNUSED_PAD src0_sel:WORD_1 src1_sel:DWORD
	v_mul_f16_sdwa v30, v19, v32 dst_sel:DWORD dst_unused:UNUSED_PAD src0_sel:WORD_1 src1_sel:DWORD
	v_fma_f16 v29, v19, v32, v29
	v_fma_f16 v19, v19, v42, -v30
	v_add_f16_e32 v30, v43, v1
	v_add_f16_sdwa v31, v3, v1 dst_sel:DWORD dst_unused:UNUSED_PAD src0_sel:DWORD src1_sel:WORD_1
	v_add_f16_e32 v30, v30, v8
	v_add_f16_e32 v31, v31, v7
	;; [unrolled: 1-line block ×21, first 2 shown]
	v_add_f16_sdwa v31, v31, v19 dst_sel:WORD_1 dst_unused:UNUSED_PAD src0_sel:DWORD src1_sel:DWORD
	v_add_f16_e32 v32, v3, v19
	v_sub_f16_e32 v3, v3, v19
	v_or_b32_e32 v30, v31, v30
	v_add_f16_e32 v31, v43, v29
	v_sub_f16_e32 v29, v43, v29
	s_mov_b32 s16, 0xb770
	v_mul_f16_e32 v19, 0xb770, v3
	s_movk_i32 s17, 0x3b15
	v_mul_f16_e32 v34, 0x3b15, v32
	s_movk_i32 s18, 0x3770
	s_mov_b32 s5, 0xba95
	v_mul_f16_e32 v36, 0xba95, v3
	s_movk_i32 s14, 0x388b
	v_mul_f16_e32 v38, 0x388b, v32
	s_movk_i32 s15, 0x3a95
	;; [unrolled: 5-line block ×3, first 2 shown]
	s_mov_b32 s20, 0xbb7b
	v_mul_f16_e32 v44, 0xbb7b, v3
	s_mov_b32 s21, 0xb5ac
	v_mul_f16_e32 v46, 0xb5ac, v32
	s_movk_i32 s22, 0x3b7b
	s_mov_b32 s23, 0xb94e
	v_mul_f16_e32 v50, 0xb94e, v3
	s_mov_b32 s24, 0xb9fd
	v_mul_f16_e32 v52, 0xb9fd, v32
	s_movk_i32 s25, 0x394e
	s_mov_b32 s26, 0xb3a8
	v_mul_f16_e32 v3, 0xb3a8, v3
	s_mov_b32 s27, 0xbbc4
	v_mul_f16_e32 v32, 0xbbc4, v32
	s_movk_i32 s28, 0x33a8
	v_fma_f16 v33, v31, s17, v19
	v_fma_f16 v35, v29, s18, v34
	v_fma_f16 v19, v31, s17, -v19
	v_fma_f16 v34, v29, s16, v34
	v_fma_f16 v37, v31, s14, v36
	v_fma_f16 v39, v29, s15, v38
	v_fma_f16 v36, v31, s14, -v36
	v_fma_f16 v38, v29, s5, v38
	;; [unrolled: 4-line block ×6, first 2 shown]
	v_add_f16_e32 v31, v7, v18
	v_sub_f16_e32 v7, v7, v18
	v_add_f16_e32 v33, v33, v1
	v_add_f16_sdwa v35, v35, v1 dst_sel:DWORD dst_unused:UNUSED_PAD src0_sel:DWORD src1_sel:WORD_1
	v_add_f16_e32 v19, v19, v1
	v_add_f16_sdwa v34, v34, v1 dst_sel:DWORD dst_unused:UNUSED_PAD src0_sel:DWORD src1_sel:WORD_1
	;; [unrolled: 2-line block ×12, first 2 shown]
	v_add_f16_e32 v29, v8, v28
	v_mul_f16_e32 v18, 0xba95, v7
	v_sub_f16_e32 v8, v8, v28
	v_fma_f16 v28, v29, s14, v18
	v_mul_f16_e32 v32, 0x388b, v31
	v_fma_f16 v18, v29, s14, -v18
	v_add_f16_e32 v28, v28, v33
	v_fma_f16 v33, v8, s15, v32
	v_add_f16_e32 v18, v18, v19
	v_fma_f16 v19, v8, s5, v32
	v_mul_f16_e32 v32, 0xbb7b, v7
	v_add_f16_e32 v33, v33, v35
	v_add_f16_e32 v19, v19, v34
	v_fma_f16 v34, v29, s21, v32
	v_mul_f16_e32 v35, 0xb5ac, v31
	v_fma_f16 v32, v29, s21, -v32
	v_add_f16_e32 v34, v34, v37
	v_fma_f16 v37, v8, s22, v35
	v_add_f16_e32 v32, v32, v36
	v_fma_f16 v35, v8, s20, v35
	v_mul_f16_e32 v36, 0xb3a8, v7
	v_add_f16_e32 v37, v37, v39
	v_add_f16_e32 v35, v35, v38
	;; [unrolled: 10-line block ×4, first 2 shown]
	v_fma_f16 v46, v29, s3, v44
	v_mul_f16_e32 v49, 0x2fb7, v31
	v_fma_f16 v44, v29, s3, -v44
	v_mul_f16_e32 v7, 0x3770, v7
	v_add_f16_e32 v46, v46, v51
	v_fma_f16 v51, v8, s2, v49
	v_add_f16_e32 v44, v44, v50
	v_fma_f16 v49, v8, s4, v49
	v_fma_f16 v50, v29, s17, v7
	v_mul_f16_e32 v31, 0x3b15, v31
	v_fma_f16 v7, v29, s17, -v7
	v_add_f16_e32 v49, v49, v52
	v_fma_f16 v52, v8, s16, v31
	v_add_f16_e32 v3, v7, v3
	v_fma_f16 v7, v8, s18, v31
	v_add_f16_e32 v8, v10, v17
	v_sub_f16_e32 v10, v10, v17
	v_add_f16_e32 v1, v7, v1
	v_add_f16_e32 v7, v9, v27
	v_mul_f16_e32 v17, 0xbbf1, v10
	v_sub_f16_e32 v9, v9, v27
	v_fma_f16 v27, v7, s3, v17
	v_add_f16_e32 v27, v27, v28
	v_mul_f16_e32 v28, 0x2fb7, v8
	v_fma_f16 v17, v7, s3, -v17
	v_add_f16_e32 v17, v17, v18
	v_fma_f16 v18, v9, s2, v28
	v_add_f16_e32 v18, v18, v19
	v_mul_f16_e32 v19, 0xb3a8, v10
	v_fma_f16 v29, v9, s4, v28
	v_fma_f16 v28, v7, s27, v19
	v_fma_f16 v19, v7, s27, -v19
	v_mul_f16_e32 v31, 0xbbc4, v8
	v_add_f16_e32 v19, v19, v32
	v_mul_f16_e32 v32, 0x3b7b, v10
	v_add_f16_e32 v29, v29, v33
	v_add_f16_e32 v28, v28, v34
	v_fma_f16 v33, v9, s28, v31
	v_fma_f16 v31, v9, s26, v31
	;; [unrolled: 1-line block ×3, first 2 shown]
	v_fma_f16 v32, v7, s21, -v32
	v_add_f16_e32 v31, v31, v35
	v_mul_f16_e32 v35, 0xb5ac, v8
	v_add_f16_e32 v32, v32, v36
	v_mul_f16_e32 v36, 0x3770, v10
	v_add_f16_e32 v33, v33, v37
	v_add_f16_e32 v34, v34, v38
	v_fma_f16 v37, v9, s20, v35
	v_fma_f16 v35, v9, s22, v35
	;; [unrolled: 1-line block ×3, first 2 shown]
	v_fma_f16 v36, v7, s17, -v36
	v_add_f16_e32 v35, v35, v39
	v_mul_f16_e32 v39, 0x3b15, v8
	v_add_f16_e32 v36, v36, v40
	v_mul_f16_e32 v40, 0xba95, v10
	v_add_f16_e32 v37, v37, v41
	v_add_f16_e32 v38, v38, v42
	v_fma_f16 v41, v9, s16, v39
	v_fma_f16 v39, v9, s18, v39
	;; [unrolled: 1-line block ×3, first 2 shown]
	v_fma_f16 v40, v7, s14, -v40
	v_mul_f16_e32 v10, 0xb94e, v10
	v_add_f16_e32 v39, v39, v43
	v_mul_f16_e32 v43, 0x388b, v8
	v_add_f16_e32 v40, v40, v44
	v_fma_f16 v44, v7, s24, v10
	v_mul_f16_e32 v8, 0xb9fd, v8
	v_fma_f16 v7, v7, s24, -v10
	v_add_f16_e32 v3, v7, v3
	v_fma_f16 v7, v9, s23, v8
	v_sub_f16_e32 v10, v11, v16
	v_add_f16_e32 v42, v42, v46
	v_fma_f16 v46, v9, s25, v8
	v_add_f16_e32 v1, v7, v1
	v_add_f16_e32 v7, v21, v26
	;; [unrolled: 1-line block ×3, first 2 shown]
	v_mul_f16_e32 v11, 0xbb7b, v10
	v_add_f16_e32 v41, v41, v45
	v_fma_f16 v45, v9, s15, v43
	v_fma_f16 v43, v9, s5, v43
	v_sub_f16_e32 v9, v21, v26
	v_fma_f16 v16, v7, s21, v11
	v_mul_f16_e32 v21, 0xb5ac, v8
	v_fma_f16 v11, v7, s21, -v11
	v_add_f16_e32 v11, v11, v17
	v_fma_f16 v17, v9, s20, v21
	v_add_f16_e32 v17, v17, v18
	v_mul_f16_e32 v18, 0x394e, v10
	v_add_f16_e32 v16, v16, v27
	v_fma_f16 v26, v9, s22, v21
	v_fma_f16 v21, v7, s24, v18
	v_mul_f16_e32 v27, 0xb9fd, v8
	v_fma_f16 v18, v7, s24, -v18
	v_add_f16_e32 v21, v21, v28
	v_fma_f16 v28, v9, s23, v27
	v_add_f16_e32 v18, v18, v19
	v_fma_f16 v19, v9, s25, v27
	v_mul_f16_e32 v27, 0x3770, v10
	v_add_f16_e32 v26, v26, v29
	v_fma_f16 v29, v7, s17, v27
	v_fma_f16 v27, v7, s17, -v27
	v_add_f16_e32 v19, v19, v31
	v_mul_f16_e32 v31, 0x3b15, v8
	v_add_f16_e32 v27, v27, v32
	v_mul_f16_e32 v32, 0xbbf1, v10
	v_add_f16_e32 v28, v28, v33
	v_add_f16_e32 v29, v29, v34
	v_fma_f16 v33, v9, s16, v31
	v_fma_f16 v31, v9, s18, v31
	;; [unrolled: 1-line block ×3, first 2 shown]
	v_fma_f16 v32, v7, s3, -v32
	v_add_f16_e32 v31, v31, v35
	v_mul_f16_e32 v35, 0x2fb7, v8
	v_add_f16_e32 v32, v32, v36
	v_mul_f16_e32 v36, 0x33a8, v10
	v_add_f16_e32 v33, v33, v37
	v_add_f16_e32 v34, v34, v38
	v_fma_f16 v37, v9, s4, v35
	v_fma_f16 v35, v9, s2, v35
	;; [unrolled: 1-line block ×3, first 2 shown]
	v_fma_f16 v36, v7, s27, -v36
	v_mul_f16_e32 v10, 0x3a95, v10
	v_add_f16_e32 v35, v35, v39
	v_mul_f16_e32 v39, 0xbbc4, v8
	v_add_f16_e32 v36, v36, v40
	v_fma_f16 v40, v7, s14, v10
	v_mul_f16_e32 v8, 0x388b, v8
	v_fma_f16 v7, v7, s14, -v10
	v_add_f16_e32 v3, v7, v3
	v_fma_f16 v7, v9, s15, v8
	v_sub_f16_e32 v10, v12, v15
	v_add_f16_e32 v38, v38, v42
	v_fma_f16 v42, v9, s5, v8
	v_add_f16_e32 v1, v7, v1
	v_add_f16_e32 v7, v22, v25
	;; [unrolled: 1-line block ×3, first 2 shown]
	v_mul_f16_e32 v12, 0xb94e, v10
	v_fma_f16 v15, v7, s24, v12
	v_add_f16_e32 v37, v37, v41
	v_fma_f16 v41, v9, s26, v39
	v_fma_f16 v39, v9, s28, v39
	v_sub_f16_e32 v9, v22, v25
	v_add_f16_e32 v15, v15, v16
	v_mul_f16_e32 v16, 0xb9fd, v8
	v_fma_f16 v12, v7, s24, -v12
	v_fma_f16 v22, v9, s25, v16
	v_add_f16_e32 v11, v12, v11
	v_fma_f16 v12, v9, s23, v16
	v_mul_f16_e32 v16, 0x3bf1, v10
	v_add_f16_e32 v12, v12, v17
	v_fma_f16 v17, v7, s3, v16
	v_add_f16_e32 v17, v17, v21
	v_mul_f16_e32 v21, 0x2fb7, v8
	v_fma_f16 v16, v7, s3, -v16
	v_add_f16_e32 v16, v16, v18
	v_fma_f16 v18, v9, s4, v21
	v_add_f16_e32 v18, v18, v19
	v_mul_f16_e32 v19, 0xba95, v10
	v_fma_f16 v25, v9, s2, v21
	v_fma_f16 v21, v7, s14, v19
	v_fma_f16 v19, v7, s14, -v19
	v_add_f16_e32 v22, v22, v26
	v_mul_f16_e32 v26, 0x388b, v8
	v_add_f16_e32 v19, v19, v27
	v_mul_f16_e32 v27, 0x33a8, v10
	v_add_f16_e32 v25, v25, v28
	v_add_f16_e32 v21, v21, v29
	v_fma_f16 v28, v9, s15, v26
	v_fma_f16 v26, v9, s5, v26
	;; [unrolled: 1-line block ×3, first 2 shown]
	v_fma_f16 v27, v7, s27, -v27
	v_add_f16_e32 v26, v26, v31
	v_mul_f16_e32 v31, 0xbbc4, v8
	v_add_f16_e32 v27, v27, v32
	v_mul_f16_e32 v32, 0x3770, v10
	v_add_f16_e32 v28, v28, v33
	v_add_f16_e32 v29, v29, v34
	v_fma_f16 v33, v9, s26, v31
	v_fma_f16 v31, v9, s28, v31
	;; [unrolled: 1-line block ×3, first 2 shown]
	v_fma_f16 v32, v7, s17, -v32
	v_mul_f16_e32 v10, 0xbb7b, v10
	v_add_f16_e32 v31, v31, v35
	v_mul_f16_e32 v35, 0x3b15, v8
	v_add_f16_e32 v32, v32, v36
	v_fma_f16 v36, v7, s21, v10
	v_mul_f16_e32 v8, 0xb5ac, v8
	v_fma_f16 v7, v7, s21, -v10
	v_add_f16_e32 v3, v7, v3
	v_fma_f16 v7, v9, s20, v8
	v_sub_f16_e32 v10, v13, v14
	v_add_f16_e32 v34, v34, v38
	v_fma_f16 v38, v9, s22, v8
	v_add_f16_e32 v1, v7, v1
	v_add_f16_e32 v7, v23, v24
	;; [unrolled: 1-line block ×3, first 2 shown]
	v_mul_f16_e32 v13, 0xb3a8, v10
	v_fma_f16 v14, v7, s27, v13
	v_add_f16_e32 v33, v33, v37
	v_fma_f16 v37, v9, s16, v35
	v_fma_f16 v35, v9, s18, v35
	v_sub_f16_e32 v9, v23, v24
	v_add_f16_e32 v14, v14, v15
	v_mul_f16_e32 v15, 0xbbc4, v8
	v_fma_f16 v13, v7, s27, -v13
	v_add_f16_e32 v11, v13, v11
	v_fma_f16 v13, v9, s26, v15
	v_add_f16_e32 v12, v13, v12
	v_mul_f16_e32 v13, 0x3770, v10
	v_fma_f16 v23, v9, s28, v15
	v_fma_f16 v15, v7, s17, v13
	v_add_f16_e32 v15, v15, v17
	v_mul_f16_e32 v17, 0x3b15, v8
	v_fma_f16 v13, v7, s17, -v13
	v_add_f16_e32 v22, v23, v22
	v_fma_f16 v23, v9, s16, v17
	v_add_f16_e32 v13, v13, v16
	v_fma_f16 v16, v9, s18, v17
	v_mul_f16_e32 v17, 0xb94e, v10
	v_add_f16_e32 v16, v16, v18
	v_fma_f16 v18, v7, s24, v17
	v_add_f16_e32 v18, v18, v21
	v_mul_f16_e32 v21, 0xb9fd, v8
	v_fma_f16 v17, v7, s24, -v17
	v_fma_f16 v24, v9, s25, v21
	v_add_f16_e32 v17, v17, v19
	v_fma_f16 v19, v9, s23, v21
	v_mul_f16_e32 v21, 0x3a95, v10
	v_add_f16_e32 v23, v23, v25
	v_fma_f16 v25, v7, s14, v21
	v_fma_f16 v21, v7, s14, -v21
	v_add_f16_e32 v19, v19, v26
	v_mul_f16_e32 v26, 0x388b, v8
	v_add_f16_e32 v21, v21, v27
	v_mul_f16_e32 v27, 0xbb7b, v10
	v_add_f16_e32 v51, v51, v53
	v_add_f16_e32 v24, v24, v28
	;; [unrolled: 1-line block ×3, first 2 shown]
	v_fma_f16 v28, v9, s5, v26
	v_fma_f16 v26, v9, s15, v26
	;; [unrolled: 1-line block ×3, first 2 shown]
	v_fma_f16 v27, v7, s21, -v27
	v_mul_f16_e32 v10, 0x3bf1, v10
	v_add_f16_e32 v50, v50, v54
	v_add_f16_e32 v52, v52, v55
	;; [unrolled: 1-line block ×4, first 2 shown]
	v_mul_f16_e32 v31, 0xb5ac, v8
	v_add_f16_e32 v27, v27, v32
	v_fma_f16 v32, v7, s3, v10
	v_mul_f16_e32 v8, 0x2fb7, v8
	v_fma_f16 v7, v7, s3, -v10
	v_add_f16_e32 v44, v44, v50
	v_add_f16_e32 v46, v46, v52
	v_add_f16_e32 v41, v41, v45
	v_add_f16_e32 v3, v7, v3
	v_fma_f16 v7, v9, s4, v8
	v_add_f16_e32 v43, v43, v49
	v_add_f16_e32 v40, v40, v44
	;; [unrolled: 1-line block ×5, first 2 shown]
	v_fma_f16 v33, v9, s22, v31
	v_add_f16_e32 v1, v7, v1
	v_pack_b32_f16 v7, v14, v22
	v_add_f16_e32 v39, v39, v43
	v_add_f16_e32 v36, v36, v40
	;; [unrolled: 1-line block ×5, first 2 shown]
	v_fma_f16 v31, v9, s20, v31
	v_fma_f16 v34, v9, s2, v8
	ds_write_b32 v47, v7 offset:476
	v_pack_b32_f16 v7, v15, v23
	v_pack_b32_f16 v8, v18, v24
	v_add_u32_e32 v9, 0x200, v47
	v_add_f16_e32 v35, v35, v39
	v_add_f16_e32 v32, v32, v36
	v_add_f16_e32 v34, v34, v38
	ds_write2_b32 v9, v7, v8 offset0:110 offset1:229
	v_pack_b32_f16 v8, v25, v28
	v_pack_b32_f16 v9, v29, v33
	v_add_u32_e32 v7, 0x600, v47
	v_add_f16_e32 v31, v31, v35
	ds_write2_b32 v7, v8, v9 offset0:92 offset1:211
	v_pack_b32_f16 v8, v32, v34
	v_pack_b32_f16 v1, v3, v1
	v_add_u32_e32 v3, 0xa00, v47
	ds_write2_b32 v3, v8, v1 offset0:74 offset1:193
	v_pack_b32_f16 v3, v27, v31
	v_pack_b32_f16 v8, v21, v26
	v_add_u32_e32 v1, 0xe00, v47
	;; [unrolled: 4-line block ×3, first 2 shown]
	s_movk_i32 s19, 0x1000
	ds_write2_b32 v9, v3, v8 offset0:38 offset1:157
	v_pack_b32_f16 v3, v11, v12
	ds_write_b32 v47, v30
	ds_write_b32 v47, v3 offset:5712
	s_waitcnt lgkmcnt(0)
	s_barrier
	s_and_b64 exec, exec, s[0:1]
	s_cbranch_execz .LBB0_23
; %bb.22:
	global_load_dword v15, v47, s[6:7]
	ds_read_b32 v16, v47
	v_mad_u64_u32 v[8:9], s[0:1], s10, v20, 0
	v_mad_u64_u32 v[10:11], s[0:1], s8, v48, 0
	s_mov_b32 s14, 0x152e8015
	s_mov_b32 s15, 0x3f452e80
	v_mad_u64_u32 v[12:13], s[0:1], s11, v20, v[9:10]
	v_mov_b32_e32 v17, s13
	s_movk_i32 s16, 0x1ff
	v_mad_u64_u32 v[13:14], s[0:1], s9, v48, v[11:12]
	s_waitcnt lgkmcnt(0)
	v_lshrrev_b32_e32 v14, 16, v16
	v_mov_b32_e32 v9, v12
	v_mov_b32_e32 v11, v13
	v_lshlrev_b64 v[8:9], 2, v[8:9]
	v_lshlrev_b64 v[10:11], 2, v[10:11]
	s_movk_i32 s10, 0xffe
	v_mov_b32_e32 v3, 0x7c00
	s_movk_i32 s18, 0x40f
	s_mov_b32 s17, 0x8000
	s_waitcnt vmcnt(0)
	v_mul_f16_sdwa v12, v14, v15 dst_sel:DWORD dst_unused:UNUSED_PAD src0_sel:DWORD src1_sel:WORD_1
	v_fma_f16 v12, v16, v15, v12
	v_mul_f16_sdwa v13, v16, v15 dst_sel:DWORD dst_unused:UNUSED_PAD src0_sel:DWORD src1_sel:WORD_1
	v_cvt_f32_f16_e32 v12, v12
	v_fma_f16 v13, v15, v14, -v13
	v_cvt_f32_f16_e32 v14, v13
	v_add_co_u32_e32 v16, vcc, s12, v8
	v_cvt_f64_f32_e32 v[12:13], v12
	v_cvt_f64_f32_e32 v[14:15], v14
	v_addc_co_u32_e32 v17, vcc, v17, v9, vcc
	v_mul_f64 v[12:13], v[12:13], s[14:15]
	v_mul_f64 v[8:9], v[14:15], s[14:15]
	v_add_co_u32_e32 v10, vcc, v16, v10
	v_addc_co_u32_e32 v11, vcc, v17, v11, vcc
	v_and_or_b32 v12, v13, s16, v12
	v_and_or_b32 v8, v9, s16, v8
	v_cmp_ne_u32_e32 vcc, 0, v12
	v_lshrrev_b32_e32 v14, 8, v13
	v_bfe_u32 v15, v13, 20, 11
	v_cndmask_b32_e64 v12, 0, 1, vcc
	v_cmp_ne_u32_e32 vcc, 0, v8
	v_lshrrev_b32_e32 v16, 8, v9
	v_bfe_u32 v17, v9, 20, 11
	v_sub_u32_e32 v18, 0x3f1, v15
	v_cndmask_b32_e64 v8, 0, 1, vcc
	v_and_or_b32 v12, v14, s10, v12
	v_sub_u32_e32 v19, 0x3f1, v17
	v_med3_i32 v14, v18, 0, 13
	v_and_or_b32 v8, v16, s10, v8
	v_or_b32_e32 v18, 0x1000, v12
	v_add_u32_e32 v15, 0xfffffc10, v15
	v_med3_i32 v16, v19, 0, 13
	v_cmp_ne_u32_e32 vcc, 0, v12
	v_or_b32_e32 v20, 0x1000, v8
	v_lshrrev_b32_e32 v22, v14, v18
	v_add_u32_e32 v17, 0xfffffc10, v17
	v_lshl_or_b32 v19, v15, 12, v12
	v_cndmask_b32_e64 v12, 0, 1, vcc
	v_cmp_ne_u32_e32 vcc, 0, v8
	v_lshrrev_b32_e32 v23, v16, v20
	v_lshlrev_b32_e32 v14, v14, v22
	v_lshl_or_b32 v21, v17, 12, v8
	v_cndmask_b32_e64 v8, 0, 1, vcc
	v_lshlrev_b32_e32 v16, v16, v23
	v_cmp_ne_u32_e32 vcc, v14, v18
	v_cndmask_b32_e64 v14, 0, 1, vcc
	v_cmp_ne_u32_e32 vcc, v16, v20
	v_cndmask_b32_e64 v16, 0, 1, vcc
	v_or_b32_e32 v14, v22, v14
	v_cmp_gt_i32_e32 vcc, 1, v15
	v_cndmask_b32_e32 v14, v19, v14, vcc
	v_or_b32_e32 v16, v23, v16
	v_cmp_gt_i32_e32 vcc, 1, v17
	v_and_b32_e32 v18, 7, v14
	v_cndmask_b32_e32 v16, v21, v16, vcc
	v_cmp_lt_i32_e32 vcc, 5, v18
	v_cmp_eq_u32_e64 s[0:1], 3, v18
	v_lshrrev_b32_e32 v14, 2, v14
	v_and_b32_e32 v19, 7, v16
	s_or_b64 vcc, s[0:1], vcc
	v_cmp_lt_i32_e64 s[2:3], 5, v19
	v_cmp_eq_u32_e64 s[4:5], 3, v19
	v_addc_co_u32_e32 v14, vcc, 0, v14, vcc
	v_lshrrev_b32_e32 v16, 2, v16
	s_or_b64 vcc, s[4:5], s[2:3]
	v_addc_co_u32_e32 v16, vcc, 0, v16, vcc
	v_cmp_gt_i32_e32 vcc, 31, v15
	v_cndmask_b32_e32 v14, v3, v14, vcc
	v_cmp_gt_i32_e32 vcc, 31, v17
	v_lshl_or_b32 v12, v12, 9, v3
	v_cndmask_b32_e32 v16, v3, v16, vcc
	v_cmp_eq_u32_e32 vcc, s18, v15
	v_lshrrev_b32_e32 v13, 16, v13
	v_lshl_or_b32 v8, v8, 9, v3
	v_cndmask_b32_e32 v12, v14, v12, vcc
	v_cmp_eq_u32_e32 vcc, s18, v17
	v_lshrrev_b32_e32 v9, 16, v9
	v_cndmask_b32_e32 v8, v16, v8, vcc
	v_and_or_b32 v12, v13, s17, v12
	v_and_or_b32 v8, v9, s17, v8
	v_and_b32_e32 v9, 0xffff, v12
	v_lshl_or_b32 v8, v8, 16, v9
	global_store_dword v[10:11], v8, off
	global_load_dword v12, v47, s[6:7] offset:364
	ds_read2_b32 v[8:9], v47 offset0:91 offset1:182
	s_mul_i32 s0, s9, 0x16c
	s_mul_hi_u32 s9, s8, 0x16c
	s_mulk_i32 s8, 0x16c
	s_add_i32 s9, s9, s0
	s_waitcnt lgkmcnt(0)
	v_lshrrev_b32_e32 v13, 16, v8
	v_add_co_u32_e32 v10, vcc, s8, v10
	s_waitcnt vmcnt(0)
	v_mul_f16_sdwa v14, v13, v12 dst_sel:DWORD dst_unused:UNUSED_PAD src0_sel:DWORD src1_sel:WORD_1
	v_fma_f16 v14, v8, v12, v14
	v_mul_f16_sdwa v8, v8, v12 dst_sel:DWORD dst_unused:UNUSED_PAD src0_sel:DWORD src1_sel:WORD_1
	v_cvt_f32_f16_e32 v14, v14
	v_fma_f16 v8, v12, v13, -v8
	v_cvt_f32_f16_e32 v8, v8
	v_cvt_f64_f32_e32 v[12:13], v14
	v_cvt_f64_f32_e32 v[14:15], v8
	v_mov_b32_e32 v8, s9
	v_mul_f64 v[12:13], v[12:13], s[14:15]
	v_addc_co_u32_e32 v11, vcc, v11, v8, vcc
	v_mul_f64 v[14:15], v[14:15], s[14:15]
	v_and_or_b32 v8, v13, s16, v12
	v_cmp_ne_u32_e32 vcc, 0, v8
	v_lshrrev_b32_e32 v12, 8, v13
	v_and_or_b32 v14, v15, s16, v14
	v_bfe_u32 v16, v13, 20, 11
	v_cndmask_b32_e64 v8, 0, 1, vcc
	v_cmp_ne_u32_e32 vcc, 0, v14
	v_lshrrev_b32_e32 v17, 8, v15
	v_bfe_u32 v18, v15, 20, 11
	v_sub_u32_e32 v19, 0x3f1, v16
	v_cndmask_b32_e64 v14, 0, 1, vcc
	v_and_or_b32 v8, v12, s10, v8
	v_sub_u32_e32 v20, 0x3f1, v18
	v_med3_i32 v12, v19, 0, 13
	v_and_or_b32 v14, v17, s10, v14
	v_or_b32_e32 v19, 0x1000, v8
	v_add_u32_e32 v16, 0xfffffc10, v16
	v_med3_i32 v17, v20, 0, 13
	v_cmp_ne_u32_e32 vcc, 0, v8
	v_or_b32_e32 v21, 0x1000, v14
	v_lshrrev_b32_e32 v23, v12, v19
	v_add_u32_e32 v18, 0xfffffc10, v18
	v_lshl_or_b32 v20, v16, 12, v8
	v_cndmask_b32_e64 v8, 0, 1, vcc
	v_cmp_ne_u32_e32 vcc, 0, v14
	v_lshrrev_b32_e32 v24, v17, v21
	v_lshlrev_b32_e32 v12, v12, v23
	v_lshl_or_b32 v22, v18, 12, v14
	v_cndmask_b32_e64 v14, 0, 1, vcc
	v_lshlrev_b32_e32 v17, v17, v24
	v_cmp_ne_u32_e32 vcc, v12, v19
	v_cndmask_b32_e64 v12, 0, 1, vcc
	v_cmp_ne_u32_e32 vcc, v17, v21
	v_cndmask_b32_e64 v17, 0, 1, vcc
	v_or_b32_e32 v12, v23, v12
	v_cmp_gt_i32_e32 vcc, 1, v16
	v_cndmask_b32_e32 v12, v20, v12, vcc
	v_or_b32_e32 v17, v24, v17
	v_cmp_gt_i32_e32 vcc, 1, v18
	v_and_b32_e32 v19, 7, v12
	v_cndmask_b32_e32 v17, v22, v17, vcc
	v_cmp_lt_i32_e32 vcc, 5, v19
	v_cmp_eq_u32_e64 s[0:1], 3, v19
	v_lshrrev_b32_e32 v12, 2, v12
	v_and_b32_e32 v20, 7, v17
	s_or_b64 vcc, s[0:1], vcc
	v_cmp_lt_i32_e64 s[2:3], 5, v20
	v_cmp_eq_u32_e64 s[4:5], 3, v20
	v_addc_co_u32_e32 v12, vcc, 0, v12, vcc
	v_lshrrev_b32_e32 v17, 2, v17
	s_or_b64 vcc, s[4:5], s[2:3]
	v_addc_co_u32_e32 v17, vcc, 0, v17, vcc
	v_cmp_gt_i32_e32 vcc, 31, v16
	v_cndmask_b32_e32 v12, v3, v12, vcc
	v_cmp_gt_i32_e32 vcc, 31, v18
	v_lshl_or_b32 v8, v8, 9, v3
	v_cndmask_b32_e32 v17, v3, v17, vcc
	v_cmp_eq_u32_e32 vcc, s18, v16
	v_lshrrev_b32_e32 v13, 16, v13
	v_lshl_or_b32 v14, v14, 9, v3
	v_cndmask_b32_e32 v8, v12, v8, vcc
	v_cmp_eq_u32_e32 vcc, s18, v18
	v_lshrrev_b32_e32 v15, 16, v15
	v_cndmask_b32_e32 v12, v17, v14, vcc
	v_and_or_b32 v8, v13, s17, v8
	v_and_or_b32 v12, v15, s17, v12
	v_and_b32_e32 v8, 0xffff, v8
	v_lshl_or_b32 v8, v12, 16, v8
	global_store_dword v[10:11], v8, off
	global_load_dword v8, v47, s[6:7] offset:728
	v_lshrrev_b32_e32 v12, 16, v9
	v_mov_b32_e32 v14, s9
	v_add_co_u32_e32 v10, vcc, s8, v10
	v_addc_co_u32_e32 v11, vcc, v11, v14, vcc
	s_waitcnt vmcnt(0)
	v_mul_f16_sdwa v13, v12, v8 dst_sel:DWORD dst_unused:UNUSED_PAD src0_sel:DWORD src1_sel:WORD_1
	v_fma_f16 v13, v9, v8, v13
	v_mul_f16_sdwa v9, v9, v8 dst_sel:DWORD dst_unused:UNUSED_PAD src0_sel:DWORD src1_sel:WORD_1
	v_cvt_f32_f16_e32 v13, v13
	v_fma_f16 v8, v8, v12, -v9
	v_cvt_f32_f16_e32 v12, v8
	v_cvt_f64_f32_e32 v[8:9], v13
	v_cvt_f64_f32_e32 v[12:13], v12
	v_mul_f64 v[8:9], v[8:9], s[14:15]
	v_mul_f64 v[12:13], v[12:13], s[14:15]
	v_and_or_b32 v8, v9, s16, v8
	v_cmp_ne_u32_e32 vcc, 0, v8
	v_and_or_b32 v12, v13, s16, v12
	v_lshrrev_b32_e32 v14, 8, v9
	v_bfe_u32 v15, v9, 20, 11
	v_cndmask_b32_e64 v8, 0, 1, vcc
	v_cmp_ne_u32_e32 vcc, 0, v12
	v_lshrrev_b32_e32 v16, 8, v13
	v_bfe_u32 v17, v13, 20, 11
	v_sub_u32_e32 v18, 0x3f1, v15
	v_cndmask_b32_e64 v12, 0, 1, vcc
	v_and_or_b32 v8, v14, s10, v8
	v_sub_u32_e32 v19, 0x3f1, v17
	v_med3_i32 v14, v18, 0, 13
	v_and_or_b32 v12, v16, s10, v12
	v_or_b32_e32 v18, 0x1000, v8
	v_add_u32_e32 v15, 0xfffffc10, v15
	v_med3_i32 v16, v19, 0, 13
	v_cmp_ne_u32_e32 vcc, 0, v8
	v_or_b32_e32 v20, 0x1000, v12
	v_lshrrev_b32_e32 v22, v14, v18
	v_add_u32_e32 v17, 0xfffffc10, v17
	v_lshl_or_b32 v19, v15, 12, v8
	v_cndmask_b32_e64 v8, 0, 1, vcc
	v_cmp_ne_u32_e32 vcc, 0, v12
	v_lshrrev_b32_e32 v23, v16, v20
	v_lshlrev_b32_e32 v14, v14, v22
	v_lshl_or_b32 v21, v17, 12, v12
	v_cndmask_b32_e64 v12, 0, 1, vcc
	v_lshlrev_b32_e32 v16, v16, v23
	v_cmp_ne_u32_e32 vcc, v14, v18
	v_cndmask_b32_e64 v14, 0, 1, vcc
	v_cmp_ne_u32_e32 vcc, v16, v20
	v_cndmask_b32_e64 v16, 0, 1, vcc
	v_or_b32_e32 v14, v22, v14
	v_cmp_gt_i32_e32 vcc, 1, v15
	v_cndmask_b32_e32 v14, v19, v14, vcc
	v_or_b32_e32 v16, v23, v16
	v_cmp_gt_i32_e32 vcc, 1, v17
	v_and_b32_e32 v18, 7, v14
	v_cndmask_b32_e32 v16, v21, v16, vcc
	v_cmp_lt_i32_e32 vcc, 5, v18
	v_cmp_eq_u32_e64 s[0:1], 3, v18
	v_lshrrev_b32_e32 v14, 2, v14
	v_and_b32_e32 v19, 7, v16
	s_or_b64 vcc, s[0:1], vcc
	v_cmp_lt_i32_e64 s[2:3], 5, v19
	v_cmp_eq_u32_e64 s[4:5], 3, v19
	v_addc_co_u32_e32 v14, vcc, 0, v14, vcc
	v_lshrrev_b32_e32 v16, 2, v16
	s_or_b64 vcc, s[4:5], s[2:3]
	v_addc_co_u32_e32 v16, vcc, 0, v16, vcc
	v_cmp_gt_i32_e32 vcc, 31, v15
	v_cndmask_b32_e32 v14, v3, v14, vcc
	v_cmp_gt_i32_e32 vcc, 31, v17
	v_lshl_or_b32 v8, v8, 9, v3
	v_cndmask_b32_e32 v16, v3, v16, vcc
	v_cmp_eq_u32_e32 vcc, s18, v15
	v_lshrrev_b32_e32 v9, 16, v9
	v_lshl_or_b32 v12, v12, 9, v3
	v_cndmask_b32_e32 v8, v14, v8, vcc
	v_cmp_eq_u32_e32 vcc, s18, v17
	v_lshrrev_b32_e32 v13, 16, v13
	v_cndmask_b32_e32 v12, v16, v12, vcc
	v_and_or_b32 v8, v9, s17, v8
	v_and_or_b32 v9, v13, s17, v12
	v_and_b32_e32 v8, 0xffff, v8
	v_lshl_or_b32 v8, v9, 16, v8
	global_store_dword v[10:11], v8, off
	global_load_dword v12, v47, s[6:7] offset:1092
	ds_read2_b32 v[8:9], v6 offset0:17 offset1:108
	v_add_co_u32_e32 v10, vcc, s8, v10
	s_waitcnt lgkmcnt(0)
	v_lshrrev_b32_e32 v6, 16, v8
	s_waitcnt vmcnt(0)
	v_mul_f16_sdwa v13, v6, v12 dst_sel:DWORD dst_unused:UNUSED_PAD src0_sel:DWORD src1_sel:WORD_1
	v_fma_f16 v13, v8, v12, v13
	v_mul_f16_sdwa v8, v8, v12 dst_sel:DWORD dst_unused:UNUSED_PAD src0_sel:DWORD src1_sel:WORD_1
	v_cvt_f32_f16_e32 v13, v13
	v_fma_f16 v6, v12, v6, -v8
	v_cvt_f32_f16_e32 v6, v6
	v_cvt_f64_f32_e32 v[12:13], v13
	v_cvt_f64_f32_e32 v[14:15], v6
	v_mov_b32_e32 v6, s9
	v_mul_f64 v[12:13], v[12:13], s[14:15]
	v_addc_co_u32_e32 v11, vcc, v11, v6, vcc
	v_mul_f64 v[14:15], v[14:15], s[14:15]
	v_and_or_b32 v6, v13, s16, v12
	v_cmp_ne_u32_e32 vcc, 0, v6
	v_lshrrev_b32_e32 v8, 8, v13
	v_and_or_b32 v14, v15, s16, v14
	v_bfe_u32 v12, v13, 20, 11
	v_cndmask_b32_e64 v6, 0, 1, vcc
	v_cmp_ne_u32_e32 vcc, 0, v14
	v_lshrrev_b32_e32 v16, 8, v15
	v_bfe_u32 v17, v15, 20, 11
	v_sub_u32_e32 v18, 0x3f1, v12
	v_cndmask_b32_e64 v14, 0, 1, vcc
	v_and_or_b32 v6, v8, s10, v6
	v_sub_u32_e32 v19, 0x3f1, v17
	v_med3_i32 v8, v18, 0, 13
	v_and_or_b32 v14, v16, s10, v14
	v_or_b32_e32 v18, 0x1000, v6
	v_add_u32_e32 v12, 0xfffffc10, v12
	v_med3_i32 v16, v19, 0, 13
	v_cmp_ne_u32_e32 vcc, 0, v6
	v_or_b32_e32 v20, 0x1000, v14
	v_lshrrev_b32_e32 v22, v8, v18
	v_add_u32_e32 v17, 0xfffffc10, v17
	v_lshl_or_b32 v19, v12, 12, v6
	v_cndmask_b32_e64 v6, 0, 1, vcc
	v_cmp_ne_u32_e32 vcc, 0, v14
	v_lshrrev_b32_e32 v23, v16, v20
	v_lshlrev_b32_e32 v8, v8, v22
	v_lshl_or_b32 v21, v17, 12, v14
	v_cndmask_b32_e64 v14, 0, 1, vcc
	v_lshlrev_b32_e32 v16, v16, v23
	v_cmp_ne_u32_e32 vcc, v8, v18
	v_cndmask_b32_e64 v8, 0, 1, vcc
	v_cmp_ne_u32_e32 vcc, v16, v20
	v_cndmask_b32_e64 v16, 0, 1, vcc
	v_or_b32_e32 v8, v22, v8
	v_cmp_gt_i32_e32 vcc, 1, v12
	v_cndmask_b32_e32 v8, v19, v8, vcc
	v_or_b32_e32 v16, v23, v16
	v_cmp_gt_i32_e32 vcc, 1, v17
	v_and_b32_e32 v18, 7, v8
	v_cndmask_b32_e32 v16, v21, v16, vcc
	v_cmp_lt_i32_e32 vcc, 5, v18
	v_cmp_eq_u32_e64 s[0:1], 3, v18
	v_lshrrev_b32_e32 v8, 2, v8
	v_and_b32_e32 v19, 7, v16
	s_or_b64 vcc, s[0:1], vcc
	v_cmp_lt_i32_e64 s[2:3], 5, v19
	v_cmp_eq_u32_e64 s[4:5], 3, v19
	v_addc_co_u32_e32 v8, vcc, 0, v8, vcc
	v_lshrrev_b32_e32 v16, 2, v16
	s_or_b64 vcc, s[4:5], s[2:3]
	v_addc_co_u32_e32 v16, vcc, 0, v16, vcc
	v_cmp_gt_i32_e32 vcc, 31, v12
	v_cndmask_b32_e32 v8, v3, v8, vcc
	v_cmp_gt_i32_e32 vcc, 31, v17
	v_lshl_or_b32 v6, v6, 9, v3
	v_cndmask_b32_e32 v16, v3, v16, vcc
	v_cmp_eq_u32_e32 vcc, s18, v12
	v_lshrrev_b32_e32 v13, 16, v13
	v_lshl_or_b32 v14, v14, 9, v3
	v_cndmask_b32_e32 v6, v8, v6, vcc
	v_cmp_eq_u32_e32 vcc, s18, v17
	v_lshrrev_b32_e32 v15, 16, v15
	v_cndmask_b32_e32 v8, v16, v14, vcc
	v_and_or_b32 v6, v13, s17, v6
	v_and_or_b32 v8, v15, s17, v8
	v_and_b32_e32 v6, 0xffff, v6
	v_lshl_or_b32 v6, v8, 16, v6
	global_store_dword v[10:11], v6, off
	global_load_dword v6, v47, s[6:7] offset:1456
	v_lshrrev_b32_e32 v8, 16, v9
	v_add_co_u32_e32 v10, vcc, s8, v10
	s_waitcnt vmcnt(0)
	v_mul_f16_sdwa v12, v8, v6 dst_sel:DWORD dst_unused:UNUSED_PAD src0_sel:DWORD src1_sel:WORD_1
	v_fma_f16 v12, v9, v6, v12
	v_mul_f16_sdwa v9, v9, v6 dst_sel:DWORD dst_unused:UNUSED_PAD src0_sel:DWORD src1_sel:WORD_1
	v_cvt_f32_f16_e32 v12, v12
	v_fma_f16 v6, v6, v8, -v9
	v_cvt_f32_f16_e32 v6, v6
	v_cvt_f64_f32_e32 v[8:9], v12
	v_cvt_f64_f32_e32 v[12:13], v6
	v_mov_b32_e32 v6, s9
	v_mul_f64 v[8:9], v[8:9], s[14:15]
	v_addc_co_u32_e32 v11, vcc, v11, v6, vcc
	v_mul_f64 v[12:13], v[12:13], s[14:15]
	v_and_or_b32 v6, v9, s16, v8
	v_cmp_ne_u32_e32 vcc, 0, v6
	v_lshrrev_b32_e32 v8, 8, v9
	v_and_or_b32 v12, v13, s16, v12
	v_bfe_u32 v14, v9, 20, 11
	v_cndmask_b32_e64 v6, 0, 1, vcc
	v_cmp_ne_u32_e32 vcc, 0, v12
	v_lshrrev_b32_e32 v15, 8, v13
	v_bfe_u32 v16, v13, 20, 11
	v_sub_u32_e32 v17, 0x3f1, v14
	v_cndmask_b32_e64 v12, 0, 1, vcc
	v_and_or_b32 v6, v8, s10, v6
	v_sub_u32_e32 v18, 0x3f1, v16
	v_med3_i32 v8, v17, 0, 13
	v_and_or_b32 v12, v15, s10, v12
	v_or_b32_e32 v17, 0x1000, v6
	v_add_u32_e32 v14, 0xfffffc10, v14
	v_med3_i32 v15, v18, 0, 13
	v_cmp_ne_u32_e32 vcc, 0, v6
	v_or_b32_e32 v19, 0x1000, v12
	v_lshrrev_b32_e32 v21, v8, v17
	v_add_u32_e32 v16, 0xfffffc10, v16
	v_lshl_or_b32 v18, v14, 12, v6
	v_cndmask_b32_e64 v6, 0, 1, vcc
	v_cmp_ne_u32_e32 vcc, 0, v12
	v_lshrrev_b32_e32 v22, v15, v19
	v_lshlrev_b32_e32 v8, v8, v21
	v_lshl_or_b32 v20, v16, 12, v12
	v_cndmask_b32_e64 v12, 0, 1, vcc
	v_lshlrev_b32_e32 v15, v15, v22
	v_cmp_ne_u32_e32 vcc, v8, v17
	v_cndmask_b32_e64 v8, 0, 1, vcc
	v_cmp_ne_u32_e32 vcc, v15, v19
	v_cndmask_b32_e64 v15, 0, 1, vcc
	v_or_b32_e32 v8, v21, v8
	v_cmp_gt_i32_e32 vcc, 1, v14
	v_cndmask_b32_e32 v8, v18, v8, vcc
	v_or_b32_e32 v15, v22, v15
	v_cmp_gt_i32_e32 vcc, 1, v16
	v_and_b32_e32 v17, 7, v8
	v_cndmask_b32_e32 v15, v20, v15, vcc
	v_cmp_lt_i32_e32 vcc, 5, v17
	v_cmp_eq_u32_e64 s[0:1], 3, v17
	v_lshrrev_b32_e32 v8, 2, v8
	v_and_b32_e32 v18, 7, v15
	s_or_b64 vcc, s[0:1], vcc
	v_cmp_lt_i32_e64 s[2:3], 5, v18
	v_cmp_eq_u32_e64 s[4:5], 3, v18
	v_addc_co_u32_e32 v8, vcc, 0, v8, vcc
	v_lshrrev_b32_e32 v15, 2, v15
	s_or_b64 vcc, s[4:5], s[2:3]
	v_addc_co_u32_e32 v15, vcc, 0, v15, vcc
	v_cmp_gt_i32_e32 vcc, 31, v14
	v_cndmask_b32_e32 v8, v3, v8, vcc
	v_cmp_gt_i32_e32 vcc, 31, v16
	v_lshl_or_b32 v6, v6, 9, v3
	v_cndmask_b32_e32 v15, v3, v15, vcc
	v_cmp_eq_u32_e32 vcc, s18, v14
	v_lshrrev_b32_e32 v9, 16, v9
	v_lshl_or_b32 v12, v12, 9, v3
	v_cndmask_b32_e32 v6, v8, v6, vcc
	v_cmp_eq_u32_e32 vcc, s18, v16
	v_lshrrev_b32_e32 v13, 16, v13
	v_cndmask_b32_e32 v8, v15, v12, vcc
	v_and_or_b32 v6, v9, s17, v6
	v_and_or_b32 v8, v13, s17, v8
	v_and_b32_e32 v6, 0xffff, v6
	v_lshl_or_b32 v6, v8, 16, v6
	global_store_dword v[10:11], v6, off
	global_load_dword v8, v47, s[6:7] offset:1820
	ds_read2_b32 v[6:7], v7 offset0:71 offset1:162
	v_add_co_u32_e32 v10, vcc, s8, v10
	s_waitcnt lgkmcnt(0)
	v_lshrrev_b32_e32 v9, 16, v6
	s_waitcnt vmcnt(0)
	v_mul_f16_sdwa v12, v9, v8 dst_sel:DWORD dst_unused:UNUSED_PAD src0_sel:DWORD src1_sel:WORD_1
	v_fma_f16 v12, v6, v8, v12
	v_mul_f16_sdwa v6, v6, v8 dst_sel:DWORD dst_unused:UNUSED_PAD src0_sel:DWORD src1_sel:WORD_1
	v_cvt_f32_f16_e32 v12, v12
	v_fma_f16 v6, v8, v9, -v6
	v_cvt_f32_f16_e32 v6, v6
	v_cvt_f64_f32_e32 v[8:9], v12
	v_cvt_f64_f32_e32 v[12:13], v6
	v_mov_b32_e32 v6, s9
	v_mul_f64 v[8:9], v[8:9], s[14:15]
	v_addc_co_u32_e32 v11, vcc, v11, v6, vcc
	v_mul_f64 v[12:13], v[12:13], s[14:15]
	v_and_or_b32 v6, v9, s16, v8
	v_cmp_ne_u32_e32 vcc, 0, v6
	v_lshrrev_b32_e32 v8, 8, v9
	v_and_or_b32 v12, v13, s16, v12
	v_bfe_u32 v14, v9, 20, 11
	v_cndmask_b32_e64 v6, 0, 1, vcc
	v_cmp_ne_u32_e32 vcc, 0, v12
	v_lshrrev_b32_e32 v15, 8, v13
	v_bfe_u32 v16, v13, 20, 11
	v_sub_u32_e32 v17, 0x3f1, v14
	v_cndmask_b32_e64 v12, 0, 1, vcc
	v_and_or_b32 v6, v8, s10, v6
	v_sub_u32_e32 v18, 0x3f1, v16
	v_med3_i32 v8, v17, 0, 13
	v_and_or_b32 v12, v15, s10, v12
	v_or_b32_e32 v17, 0x1000, v6
	v_add_u32_e32 v14, 0xfffffc10, v14
	v_med3_i32 v15, v18, 0, 13
	v_cmp_ne_u32_e32 vcc, 0, v6
	v_or_b32_e32 v19, 0x1000, v12
	v_lshrrev_b32_e32 v21, v8, v17
	v_add_u32_e32 v16, 0xfffffc10, v16
	v_lshl_or_b32 v18, v14, 12, v6
	v_cndmask_b32_e64 v6, 0, 1, vcc
	v_cmp_ne_u32_e32 vcc, 0, v12
	v_lshrrev_b32_e32 v22, v15, v19
	v_lshlrev_b32_e32 v8, v8, v21
	v_lshl_or_b32 v20, v16, 12, v12
	v_cndmask_b32_e64 v12, 0, 1, vcc
	v_lshlrev_b32_e32 v15, v15, v22
	v_cmp_ne_u32_e32 vcc, v8, v17
	v_cndmask_b32_e64 v8, 0, 1, vcc
	v_cmp_ne_u32_e32 vcc, v15, v19
	v_cndmask_b32_e64 v15, 0, 1, vcc
	v_or_b32_e32 v8, v21, v8
	v_cmp_gt_i32_e32 vcc, 1, v14
	v_cndmask_b32_e32 v8, v18, v8, vcc
	v_or_b32_e32 v15, v22, v15
	v_cmp_gt_i32_e32 vcc, 1, v16
	v_and_b32_e32 v17, 7, v8
	v_cndmask_b32_e32 v15, v20, v15, vcc
	v_cmp_lt_i32_e32 vcc, 5, v17
	v_cmp_eq_u32_e64 s[0:1], 3, v17
	v_lshrrev_b32_e32 v8, 2, v8
	v_and_b32_e32 v18, 7, v15
	s_or_b64 vcc, s[0:1], vcc
	v_cmp_lt_i32_e64 s[2:3], 5, v18
	v_cmp_eq_u32_e64 s[4:5], 3, v18
	v_addc_co_u32_e32 v8, vcc, 0, v8, vcc
	v_lshrrev_b32_e32 v15, 2, v15
	s_or_b64 vcc, s[4:5], s[2:3]
	v_addc_co_u32_e32 v15, vcc, 0, v15, vcc
	v_cmp_gt_i32_e32 vcc, 31, v14
	v_cndmask_b32_e32 v8, v3, v8, vcc
	v_cmp_gt_i32_e32 vcc, 31, v16
	v_lshl_or_b32 v6, v6, 9, v3
	v_cndmask_b32_e32 v15, v3, v15, vcc
	v_cmp_eq_u32_e32 vcc, s18, v14
	v_lshrrev_b32_e32 v9, 16, v9
	v_lshl_or_b32 v12, v12, 9, v3
	v_cndmask_b32_e32 v6, v8, v6, vcc
	v_cmp_eq_u32_e32 vcc, s18, v16
	v_lshrrev_b32_e32 v13, 16, v13
	v_cndmask_b32_e32 v8, v15, v12, vcc
	v_and_or_b32 v6, v9, s17, v6
	v_and_or_b32 v8, v13, s17, v8
	v_and_b32_e32 v6, 0xffff, v6
	v_lshl_or_b32 v6, v8, 16, v6
	global_store_dword v[10:11], v6, off
	global_load_dword v6, v47, s[6:7] offset:2184
	v_lshrrev_b32_e32 v8, 16, v7
	v_mov_b32_e32 v12, s9
	v_add_co_u32_e32 v10, vcc, s8, v10
	v_addc_co_u32_e32 v11, vcc, v11, v12, vcc
	s_waitcnt vmcnt(0)
	v_mul_f16_sdwa v9, v8, v6 dst_sel:DWORD dst_unused:UNUSED_PAD src0_sel:DWORD src1_sel:WORD_1
	v_fma_f16 v9, v7, v6, v9
	v_mul_f16_sdwa v7, v7, v6 dst_sel:DWORD dst_unused:UNUSED_PAD src0_sel:DWORD src1_sel:WORD_1
	v_cvt_f32_f16_e32 v9, v9
	v_fma_f16 v6, v6, v8, -v7
	v_cvt_f32_f16_e32 v8, v6
	v_cvt_f64_f32_e32 v[6:7], v9
	v_cvt_f64_f32_e32 v[8:9], v8
	v_mul_f64 v[6:7], v[6:7], s[14:15]
	v_mul_f64 v[8:9], v[8:9], s[14:15]
	v_and_or_b32 v6, v7, s16, v6
	v_cmp_ne_u32_e32 vcc, 0, v6
	v_and_or_b32 v8, v9, s16, v8
	v_lshrrev_b32_e32 v12, 8, v7
	v_bfe_u32 v13, v7, 20, 11
	v_cndmask_b32_e64 v6, 0, 1, vcc
	v_cmp_ne_u32_e32 vcc, 0, v8
	v_lshrrev_b32_e32 v14, 8, v9
	v_bfe_u32 v15, v9, 20, 11
	v_sub_u32_e32 v16, 0x3f1, v13
	v_cndmask_b32_e64 v8, 0, 1, vcc
	v_and_or_b32 v6, v12, s10, v6
	v_sub_u32_e32 v17, 0x3f1, v15
	v_med3_i32 v12, v16, 0, 13
	v_and_or_b32 v8, v14, s10, v8
	v_or_b32_e32 v16, 0x1000, v6
	v_add_u32_e32 v13, 0xfffffc10, v13
	v_med3_i32 v14, v17, 0, 13
	v_cmp_ne_u32_e32 vcc, 0, v6
	v_or_b32_e32 v18, 0x1000, v8
	v_lshrrev_b32_e32 v20, v12, v16
	v_add_u32_e32 v15, 0xfffffc10, v15
	v_lshl_or_b32 v17, v13, 12, v6
	v_cndmask_b32_e64 v6, 0, 1, vcc
	v_cmp_ne_u32_e32 vcc, 0, v8
	v_lshrrev_b32_e32 v21, v14, v18
	v_lshlrev_b32_e32 v12, v12, v20
	v_lshl_or_b32 v19, v15, 12, v8
	v_cndmask_b32_e64 v8, 0, 1, vcc
	v_lshlrev_b32_e32 v14, v14, v21
	v_cmp_ne_u32_e32 vcc, v12, v16
	v_cndmask_b32_e64 v12, 0, 1, vcc
	v_cmp_ne_u32_e32 vcc, v14, v18
	v_cndmask_b32_e64 v14, 0, 1, vcc
	v_or_b32_e32 v12, v20, v12
	v_cmp_gt_i32_e32 vcc, 1, v13
	v_cndmask_b32_e32 v12, v17, v12, vcc
	v_or_b32_e32 v14, v21, v14
	v_cmp_gt_i32_e32 vcc, 1, v15
	v_and_b32_e32 v16, 7, v12
	v_cndmask_b32_e32 v14, v19, v14, vcc
	v_cmp_lt_i32_e32 vcc, 5, v16
	v_cmp_eq_u32_e64 s[0:1], 3, v16
	v_lshrrev_b32_e32 v12, 2, v12
	v_and_b32_e32 v17, 7, v14
	s_or_b64 vcc, s[0:1], vcc
	v_cmp_lt_i32_e64 s[2:3], 5, v17
	v_cmp_eq_u32_e64 s[4:5], 3, v17
	v_addc_co_u32_e32 v12, vcc, 0, v12, vcc
	v_lshrrev_b32_e32 v14, 2, v14
	s_or_b64 vcc, s[4:5], s[2:3]
	v_addc_co_u32_e32 v14, vcc, 0, v14, vcc
	v_cmp_gt_i32_e32 vcc, 31, v13
	v_cndmask_b32_e32 v12, v3, v12, vcc
	v_cmp_gt_i32_e32 vcc, 31, v15
	v_lshl_or_b32 v6, v6, 9, v3
	v_cndmask_b32_e32 v14, v3, v14, vcc
	v_cmp_eq_u32_e32 vcc, s18, v13
	v_lshrrev_b32_e32 v7, 16, v7
	v_lshl_or_b32 v8, v8, 9, v3
	v_cndmask_b32_e32 v6, v12, v6, vcc
	v_cmp_eq_u32_e32 vcc, s18, v15
	v_lshrrev_b32_e32 v9, 16, v9
	v_cndmask_b32_e32 v8, v14, v8, vcc
	v_and_or_b32 v6, v7, s17, v6
	v_and_or_b32 v7, v9, s17, v8
	v_and_b32_e32 v6, 0xffff, v6
	v_lshl_or_b32 v6, v7, 16, v6
	global_store_dword v[10:11], v6, off
	global_load_dword v7, v47, s[6:7] offset:2548
	ds_read2_b32 v[5:6], v5 offset0:125 offset1:216
	s_waitcnt lgkmcnt(0)
	v_lshrrev_b32_e32 v8, 16, v5
	s_waitcnt vmcnt(0)
	v_mul_f16_sdwa v9, v8, v7 dst_sel:DWORD dst_unused:UNUSED_PAD src0_sel:DWORD src1_sel:WORD_1
	v_fma_f16 v9, v5, v7, v9
	v_mul_f16_sdwa v5, v5, v7 dst_sel:DWORD dst_unused:UNUSED_PAD src0_sel:DWORD src1_sel:WORD_1
	v_cvt_f32_f16_e32 v9, v9
	v_fma_f16 v5, v7, v8, -v5
	v_cvt_f32_f16_e32 v5, v5
	v_cvt_f64_f32_e32 v[7:8], v9
	v_add_co_u32_e32 v9, vcc, s8, v10
	v_cvt_f64_f32_e32 v[12:13], v5
	v_mul_f64 v[7:8], v[7:8], s[14:15]
	v_mov_b32_e32 v5, s9
	v_addc_co_u32_e32 v10, vcc, v11, v5, vcc
	v_mul_f64 v[12:13], v[12:13], s[14:15]
	v_and_or_b32 v5, v8, s16, v7
	v_cmp_ne_u32_e32 vcc, 0, v5
	v_lshrrev_b32_e32 v7, 8, v8
	v_bfe_u32 v11, v8, 20, 11
	v_and_or_b32 v12, v13, s16, v12
	v_cndmask_b32_e64 v5, 0, 1, vcc
	v_cmp_ne_u32_e32 vcc, 0, v12
	v_lshrrev_b32_e32 v14, 8, v13
	v_bfe_u32 v15, v13, 20, 11
	v_sub_u32_e32 v16, 0x3f1, v11
	v_cndmask_b32_e64 v12, 0, 1, vcc
	v_and_or_b32 v5, v7, s10, v5
	v_sub_u32_e32 v17, 0x3f1, v15
	v_med3_i32 v7, v16, 0, 13
	v_and_or_b32 v12, v14, s10, v12
	v_or_b32_e32 v16, 0x1000, v5
	v_add_u32_e32 v11, 0xfffffc10, v11
	v_med3_i32 v14, v17, 0, 13
	v_cmp_ne_u32_e32 vcc, 0, v5
	v_or_b32_e32 v18, 0x1000, v12
	v_lshrrev_b32_e32 v20, v7, v16
	v_add_u32_e32 v15, 0xfffffc10, v15
	v_lshl_or_b32 v17, v11, 12, v5
	v_cndmask_b32_e64 v5, 0, 1, vcc
	v_cmp_ne_u32_e32 vcc, 0, v12
	v_lshrrev_b32_e32 v21, v14, v18
	v_lshlrev_b32_e32 v7, v7, v20
	v_lshl_or_b32 v19, v15, 12, v12
	v_cndmask_b32_e64 v12, 0, 1, vcc
	v_lshlrev_b32_e32 v14, v14, v21
	v_cmp_ne_u32_e32 vcc, v7, v16
	v_cndmask_b32_e64 v7, 0, 1, vcc
	v_cmp_ne_u32_e32 vcc, v14, v18
	v_cndmask_b32_e64 v14, 0, 1, vcc
	v_or_b32_e32 v7, v20, v7
	v_cmp_gt_i32_e32 vcc, 1, v11
	v_cndmask_b32_e32 v7, v17, v7, vcc
	v_or_b32_e32 v14, v21, v14
	v_cmp_gt_i32_e32 vcc, 1, v15
	v_and_b32_e32 v16, 7, v7
	v_cndmask_b32_e32 v14, v19, v14, vcc
	v_cmp_lt_i32_e32 vcc, 5, v16
	v_cmp_eq_u32_e64 s[0:1], 3, v16
	v_lshrrev_b32_e32 v7, 2, v7
	v_and_b32_e32 v17, 7, v14
	s_or_b64 vcc, s[0:1], vcc
	v_cmp_lt_i32_e64 s[2:3], 5, v17
	v_cmp_eq_u32_e64 s[4:5], 3, v17
	v_addc_co_u32_e32 v7, vcc, 0, v7, vcc
	v_lshrrev_b32_e32 v14, 2, v14
	s_or_b64 vcc, s[4:5], s[2:3]
	v_addc_co_u32_e32 v14, vcc, 0, v14, vcc
	v_cmp_gt_i32_e32 vcc, 31, v11
	v_cndmask_b32_e32 v7, v3, v7, vcc
	v_cmp_gt_i32_e32 vcc, 31, v15
	v_lshl_or_b32 v5, v5, 9, v3
	v_cndmask_b32_e32 v14, v3, v14, vcc
	v_cmp_eq_u32_e32 vcc, s18, v11
	v_lshrrev_b32_e32 v8, 16, v8
	v_lshl_or_b32 v12, v12, 9, v3
	v_cndmask_b32_e32 v5, v7, v5, vcc
	v_cmp_eq_u32_e32 vcc, s18, v15
	v_lshrrev_b32_e32 v13, 16, v13
	v_cndmask_b32_e32 v7, v14, v12, vcc
	v_and_or_b32 v5, v8, s17, v5
	v_and_or_b32 v7, v13, s17, v7
	v_and_b32_e32 v5, 0xffff, v5
	v_lshl_or_b32 v5, v7, 16, v5
	global_store_dword v[9:10], v5, off
	global_load_dword v5, v47, s[6:7] offset:2912
	v_lshrrev_b32_e32 v7, 16, v6
	v_mov_b32_e32 v11, s9
	v_add_co_u32_e32 v9, vcc, s8, v9
	v_addc_co_u32_e32 v10, vcc, v10, v11, vcc
	s_waitcnt vmcnt(0)
	v_mul_f16_sdwa v8, v7, v5 dst_sel:DWORD dst_unused:UNUSED_PAD src0_sel:DWORD src1_sel:WORD_1
	v_fma_f16 v8, v6, v5, v8
	v_mul_f16_sdwa v6, v6, v5 dst_sel:DWORD dst_unused:UNUSED_PAD src0_sel:DWORD src1_sel:WORD_1
	v_cvt_f32_f16_e32 v8, v8
	v_fma_f16 v5, v5, v7, -v6
	v_cvt_f32_f16_e32 v7, v5
	v_cvt_f64_f32_e32 v[5:6], v8
	v_cvt_f64_f32_e32 v[7:8], v7
	v_mul_f64 v[5:6], v[5:6], s[14:15]
	v_mul_f64 v[7:8], v[7:8], s[14:15]
	v_and_or_b32 v5, v6, s16, v5
	v_cmp_ne_u32_e32 vcc, 0, v5
	v_and_or_b32 v7, v8, s16, v7
	v_lshrrev_b32_e32 v11, 8, v6
	v_bfe_u32 v12, v6, 20, 11
	v_cndmask_b32_e64 v5, 0, 1, vcc
	v_cmp_ne_u32_e32 vcc, 0, v7
	v_lshrrev_b32_e32 v13, 8, v8
	v_bfe_u32 v14, v8, 20, 11
	v_sub_u32_e32 v15, 0x3f1, v12
	v_cndmask_b32_e64 v7, 0, 1, vcc
	v_and_or_b32 v5, v11, s10, v5
	v_sub_u32_e32 v16, 0x3f1, v14
	v_med3_i32 v11, v15, 0, 13
	v_and_or_b32 v7, v13, s10, v7
	v_or_b32_e32 v15, 0x1000, v5
	v_add_u32_e32 v12, 0xfffffc10, v12
	v_med3_i32 v13, v16, 0, 13
	v_cmp_ne_u32_e32 vcc, 0, v5
	v_or_b32_e32 v17, 0x1000, v7
	v_lshrrev_b32_e32 v19, v11, v15
	v_add_u32_e32 v14, 0xfffffc10, v14
	v_lshl_or_b32 v16, v12, 12, v5
	v_cndmask_b32_e64 v5, 0, 1, vcc
	v_cmp_ne_u32_e32 vcc, 0, v7
	v_lshrrev_b32_e32 v20, v13, v17
	v_lshlrev_b32_e32 v11, v11, v19
	v_lshl_or_b32 v18, v14, 12, v7
	v_cndmask_b32_e64 v7, 0, 1, vcc
	v_lshlrev_b32_e32 v13, v13, v20
	v_cmp_ne_u32_e32 vcc, v11, v15
	v_cndmask_b32_e64 v11, 0, 1, vcc
	v_cmp_ne_u32_e32 vcc, v13, v17
	v_cndmask_b32_e64 v13, 0, 1, vcc
	v_or_b32_e32 v11, v19, v11
	v_cmp_gt_i32_e32 vcc, 1, v12
	v_cndmask_b32_e32 v11, v16, v11, vcc
	v_or_b32_e32 v13, v20, v13
	v_cmp_gt_i32_e32 vcc, 1, v14
	v_and_b32_e32 v15, 7, v11
	v_cndmask_b32_e32 v13, v18, v13, vcc
	v_cmp_lt_i32_e32 vcc, 5, v15
	v_cmp_eq_u32_e64 s[0:1], 3, v15
	v_lshrrev_b32_e32 v11, 2, v11
	v_and_b32_e32 v16, 7, v13
	s_or_b64 vcc, s[0:1], vcc
	v_cmp_lt_i32_e64 s[2:3], 5, v16
	v_cmp_eq_u32_e64 s[4:5], 3, v16
	v_addc_co_u32_e32 v11, vcc, 0, v11, vcc
	v_lshrrev_b32_e32 v13, 2, v13
	s_or_b64 vcc, s[4:5], s[2:3]
	v_addc_co_u32_e32 v13, vcc, 0, v13, vcc
	v_cmp_gt_i32_e32 vcc, 31, v12
	v_cndmask_b32_e32 v11, v3, v11, vcc
	v_cmp_gt_i32_e32 vcc, 31, v14
	v_lshl_or_b32 v5, v5, 9, v3
	v_cndmask_b32_e32 v13, v3, v13, vcc
	v_cmp_eq_u32_e32 vcc, s18, v12
	v_lshrrev_b32_e32 v6, 16, v6
	v_lshl_or_b32 v7, v7, 9, v3
	v_cndmask_b32_e32 v5, v11, v5, vcc
	v_cmp_eq_u32_e32 vcc, s18, v14
	v_lshrrev_b32_e32 v8, 16, v8
	v_cndmask_b32_e32 v7, v13, v7, vcc
	v_and_or_b32 v5, v6, s17, v5
	v_and_or_b32 v6, v8, s17, v7
	v_and_b32_e32 v5, 0xffff, v5
	v_lshl_or_b32 v5, v6, 16, v5
	global_store_dword v[9:10], v5, off
	global_load_dword v7, v47, s[6:7] offset:3276
	ds_read2_b32 v[5:6], v0 offset0:51 offset1:142
	v_add_co_u32_e32 v9, vcc, s8, v9
	s_waitcnt lgkmcnt(0)
	v_lshrrev_b32_e32 v0, 16, v5
	s_waitcnt vmcnt(0)
	v_mul_f16_sdwa v8, v0, v7 dst_sel:DWORD dst_unused:UNUSED_PAD src0_sel:DWORD src1_sel:WORD_1
	v_fma_f16 v8, v5, v7, v8
	v_mul_f16_sdwa v5, v5, v7 dst_sel:DWORD dst_unused:UNUSED_PAD src0_sel:DWORD src1_sel:WORD_1
	v_cvt_f32_f16_e32 v8, v8
	v_fma_f16 v0, v7, v0, -v5
	v_cvt_f32_f16_e32 v0, v0
	v_cvt_f64_f32_e32 v[7:8], v8
	v_cvt_f64_f32_e32 v[11:12], v0
	v_mov_b32_e32 v0, s9
	v_mul_f64 v[7:8], v[7:8], s[14:15]
	v_addc_co_u32_e32 v10, vcc, v10, v0, vcc
	v_mul_f64 v[11:12], v[11:12], s[14:15]
	v_and_or_b32 v0, v8, s16, v7
	v_cmp_ne_u32_e32 vcc, 0, v0
	v_lshrrev_b32_e32 v5, 8, v8
	v_and_or_b32 v11, v12, s16, v11
	v_bfe_u32 v7, v8, 20, 11
	v_cndmask_b32_e64 v0, 0, 1, vcc
	v_cmp_ne_u32_e32 vcc, 0, v11
	v_lshrrev_b32_e32 v13, 8, v12
	v_bfe_u32 v14, v12, 20, 11
	v_sub_u32_e32 v15, 0x3f1, v7
	v_cndmask_b32_e64 v11, 0, 1, vcc
	v_and_or_b32 v0, v5, s10, v0
	v_sub_u32_e32 v16, 0x3f1, v14
	v_med3_i32 v5, v15, 0, 13
	v_and_or_b32 v11, v13, s10, v11
	v_or_b32_e32 v15, 0x1000, v0
	v_add_u32_e32 v7, 0xfffffc10, v7
	v_med3_i32 v13, v16, 0, 13
	v_cmp_ne_u32_e32 vcc, 0, v0
	v_or_b32_e32 v17, 0x1000, v11
	v_lshrrev_b32_e32 v19, v5, v15
	v_add_u32_e32 v14, 0xfffffc10, v14
	v_lshl_or_b32 v16, v7, 12, v0
	v_cndmask_b32_e64 v0, 0, 1, vcc
	v_cmp_ne_u32_e32 vcc, 0, v11
	v_lshrrev_b32_e32 v20, v13, v17
	v_lshlrev_b32_e32 v5, v5, v19
	v_lshl_or_b32 v18, v14, 12, v11
	v_cndmask_b32_e64 v11, 0, 1, vcc
	v_lshlrev_b32_e32 v13, v13, v20
	v_cmp_ne_u32_e32 vcc, v5, v15
	v_cndmask_b32_e64 v5, 0, 1, vcc
	v_cmp_ne_u32_e32 vcc, v13, v17
	v_cndmask_b32_e64 v13, 0, 1, vcc
	v_or_b32_e32 v5, v19, v5
	v_cmp_gt_i32_e32 vcc, 1, v7
	v_cndmask_b32_e32 v5, v16, v5, vcc
	v_or_b32_e32 v13, v20, v13
	v_cmp_gt_i32_e32 vcc, 1, v14
	v_and_b32_e32 v15, 7, v5
	v_cndmask_b32_e32 v13, v18, v13, vcc
	v_cmp_lt_i32_e32 vcc, 5, v15
	v_cmp_eq_u32_e64 s[0:1], 3, v15
	v_lshrrev_b32_e32 v5, 2, v5
	v_and_b32_e32 v16, 7, v13
	s_or_b64 vcc, s[0:1], vcc
	v_cmp_lt_i32_e64 s[2:3], 5, v16
	v_cmp_eq_u32_e64 s[4:5], 3, v16
	v_addc_co_u32_e32 v5, vcc, 0, v5, vcc
	v_lshrrev_b32_e32 v13, 2, v13
	s_or_b64 vcc, s[4:5], s[2:3]
	v_addc_co_u32_e32 v13, vcc, 0, v13, vcc
	v_cmp_gt_i32_e32 vcc, 31, v7
	v_cndmask_b32_e32 v5, v3, v5, vcc
	v_cmp_gt_i32_e32 vcc, 31, v14
	v_lshl_or_b32 v0, v0, 9, v3
	v_cndmask_b32_e32 v13, v3, v13, vcc
	v_cmp_eq_u32_e32 vcc, s18, v7
	v_lshrrev_b32_e32 v8, 16, v8
	v_lshl_or_b32 v11, v11, 9, v3
	v_cndmask_b32_e32 v0, v5, v0, vcc
	v_cmp_eq_u32_e32 vcc, s18, v14
	v_lshrrev_b32_e32 v12, 16, v12
	v_cndmask_b32_e32 v5, v13, v11, vcc
	v_and_or_b32 v0, v8, s17, v0
	v_and_or_b32 v5, v12, s17, v5
	v_and_b32_e32 v0, 0xffff, v0
	v_lshl_or_b32 v0, v5, 16, v0
	global_store_dword v[9:10], v0, off
	global_load_dword v0, v47, s[6:7] offset:3640
	v_lshrrev_b32_e32 v5, 16, v6
	v_add_co_u32_e32 v9, vcc, s8, v9
	s_waitcnt vmcnt(0)
	v_mul_f16_sdwa v7, v5, v0 dst_sel:DWORD dst_unused:UNUSED_PAD src0_sel:DWORD src1_sel:WORD_1
	v_fma_f16 v7, v6, v0, v7
	v_mul_f16_sdwa v6, v6, v0 dst_sel:DWORD dst_unused:UNUSED_PAD src0_sel:DWORD src1_sel:WORD_1
	v_cvt_f32_f16_e32 v7, v7
	v_fma_f16 v0, v0, v5, -v6
	v_cvt_f32_f16_e32 v0, v0
	v_cvt_f64_f32_e32 v[5:6], v7
	v_cvt_f64_f32_e32 v[7:8], v0
	v_mov_b32_e32 v0, s9
	v_mul_f64 v[5:6], v[5:6], s[14:15]
	v_addc_co_u32_e32 v10, vcc, v10, v0, vcc
	v_mul_f64 v[7:8], v[7:8], s[14:15]
	v_and_or_b32 v0, v6, s16, v5
	v_cmp_ne_u32_e32 vcc, 0, v0
	v_lshrrev_b32_e32 v5, 8, v6
	v_and_or_b32 v7, v8, s16, v7
	v_bfe_u32 v11, v6, 20, 11
	v_cndmask_b32_e64 v0, 0, 1, vcc
	v_cmp_ne_u32_e32 vcc, 0, v7
	v_lshrrev_b32_e32 v12, 8, v8
	v_bfe_u32 v13, v8, 20, 11
	v_sub_u32_e32 v14, 0x3f1, v11
	v_cndmask_b32_e64 v7, 0, 1, vcc
	v_and_or_b32 v0, v5, s10, v0
	v_sub_u32_e32 v15, 0x3f1, v13
	v_med3_i32 v5, v14, 0, 13
	v_and_or_b32 v7, v12, s10, v7
	v_or_b32_e32 v14, 0x1000, v0
	v_add_u32_e32 v11, 0xfffffc10, v11
	v_med3_i32 v12, v15, 0, 13
	v_cmp_ne_u32_e32 vcc, 0, v0
	v_or_b32_e32 v16, 0x1000, v7
	v_lshrrev_b32_e32 v18, v5, v14
	v_add_u32_e32 v13, 0xfffffc10, v13
	v_lshl_or_b32 v15, v11, 12, v0
	v_cndmask_b32_e64 v0, 0, 1, vcc
	v_cmp_ne_u32_e32 vcc, 0, v7
	v_lshrrev_b32_e32 v19, v12, v16
	v_lshlrev_b32_e32 v5, v5, v18
	v_lshl_or_b32 v17, v13, 12, v7
	v_cndmask_b32_e64 v7, 0, 1, vcc
	v_lshlrev_b32_e32 v12, v12, v19
	v_cmp_ne_u32_e32 vcc, v5, v14
	v_cndmask_b32_e64 v5, 0, 1, vcc
	v_cmp_ne_u32_e32 vcc, v12, v16
	v_cndmask_b32_e64 v12, 0, 1, vcc
	v_or_b32_e32 v5, v18, v5
	v_cmp_gt_i32_e32 vcc, 1, v11
	v_cndmask_b32_e32 v5, v15, v5, vcc
	v_or_b32_e32 v12, v19, v12
	v_cmp_gt_i32_e32 vcc, 1, v13
	v_and_b32_e32 v14, 7, v5
	v_cndmask_b32_e32 v12, v17, v12, vcc
	v_cmp_lt_i32_e32 vcc, 5, v14
	v_cmp_eq_u32_e64 s[0:1], 3, v14
	v_lshrrev_b32_e32 v5, 2, v5
	v_and_b32_e32 v15, 7, v12
	s_or_b64 vcc, s[0:1], vcc
	v_cmp_lt_i32_e64 s[2:3], 5, v15
	v_cmp_eq_u32_e64 s[4:5], 3, v15
	v_addc_co_u32_e32 v5, vcc, 0, v5, vcc
	v_lshrrev_b32_e32 v12, 2, v12
	s_or_b64 vcc, s[4:5], s[2:3]
	v_addc_co_u32_e32 v12, vcc, 0, v12, vcc
	v_cmp_gt_i32_e32 vcc, 31, v11
	v_cndmask_b32_e32 v5, v3, v5, vcc
	v_cmp_gt_i32_e32 vcc, 31, v13
	v_lshl_or_b32 v0, v0, 9, v3
	v_cndmask_b32_e32 v12, v3, v12, vcc
	v_cmp_eq_u32_e32 vcc, s18, v11
	v_lshrrev_b32_e32 v6, 16, v6
	v_lshl_or_b32 v7, v7, 9, v3
	v_cndmask_b32_e32 v0, v5, v0, vcc
	v_cmp_eq_u32_e32 vcc, s18, v13
	v_lshrrev_b32_e32 v8, 16, v8
	v_cndmask_b32_e32 v5, v12, v7, vcc
	v_and_or_b32 v0, v6, s17, v0
	v_and_or_b32 v5, v8, s17, v5
	v_and_b32_e32 v0, 0xffff, v0
	v_lshl_or_b32 v0, v5, 16, v0
	global_store_dword v[9:10], v0, off
	global_load_dword v0, v47, s[6:7] offset:4004
	ds_read2_b32 v[5:6], v1 offset0:105 offset1:196
	v_mov_b32_e32 v7, s7
	v_add_co_u32_e32 v13, vcc, s6, v47
	v_addc_co_u32_e32 v14, vcc, 0, v7, vcc
	s_waitcnt lgkmcnt(0)
	v_lshrrev_b32_e32 v1, 16, v5
	v_mov_b32_e32 v15, s9
	s_waitcnt vmcnt(0)
	v_mul_f16_sdwa v8, v1, v0 dst_sel:DWORD dst_unused:UNUSED_PAD src0_sel:DWORD src1_sel:WORD_1
	v_fma_f16 v8, v5, v0, v8
	v_mul_f16_sdwa v5, v5, v0 dst_sel:DWORD dst_unused:UNUSED_PAD src0_sel:DWORD src1_sel:WORD_1
	v_cvt_f32_f16_e32 v8, v8
	v_fma_f16 v0, v0, v1, -v5
	v_cvt_f32_f16_e32 v5, v0
	v_cvt_f64_f32_e32 v[0:1], v8
	v_cvt_f64_f32_e32 v[7:8], v5
	v_mul_f64 v[11:12], v[0:1], s[14:15]
	v_add_co_u32_e32 v0, vcc, s19, v13
	v_mul_f64 v[7:8], v[7:8], s[14:15]
	v_addc_co_u32_e32 v1, vcc, 0, v14, vcc
	v_add_co_u32_e32 v9, vcc, s8, v9
	v_addc_co_u32_e32 v10, vcc, v10, v15, vcc
	v_and_or_b32 v5, v12, s16, v11
	v_and_or_b32 v7, v8, s16, v7
	v_cmp_ne_u32_e32 vcc, 0, v5
	v_lshrrev_b32_e32 v11, 8, v12
	v_bfe_u32 v13, v12, 20, 11
	v_cndmask_b32_e64 v5, 0, 1, vcc
	v_cmp_ne_u32_e32 vcc, 0, v7
	v_lshrrev_b32_e32 v14, 8, v8
	v_bfe_u32 v15, v8, 20, 11
	v_sub_u32_e32 v16, 0x3f1, v13
	v_cndmask_b32_e64 v7, 0, 1, vcc
	v_and_or_b32 v5, v11, s10, v5
	v_sub_u32_e32 v17, 0x3f1, v15
	v_med3_i32 v11, v16, 0, 13
	v_and_or_b32 v7, v14, s10, v7
	v_or_b32_e32 v16, 0x1000, v5
	v_add_u32_e32 v13, 0xfffffc10, v13
	v_med3_i32 v14, v17, 0, 13
	v_cmp_ne_u32_e32 vcc, 0, v5
	v_or_b32_e32 v18, 0x1000, v7
	v_lshrrev_b32_e32 v20, v11, v16
	v_add_u32_e32 v15, 0xfffffc10, v15
	v_lshl_or_b32 v17, v13, 12, v5
	v_cndmask_b32_e64 v5, 0, 1, vcc
	v_cmp_ne_u32_e32 vcc, 0, v7
	v_lshrrev_b32_e32 v21, v14, v18
	v_lshlrev_b32_e32 v11, v11, v20
	v_lshl_or_b32 v19, v15, 12, v7
	v_cndmask_b32_e64 v7, 0, 1, vcc
	v_lshlrev_b32_e32 v14, v14, v21
	v_cmp_ne_u32_e32 vcc, v11, v16
	v_cndmask_b32_e64 v11, 0, 1, vcc
	v_cmp_ne_u32_e32 vcc, v14, v18
	v_cndmask_b32_e64 v14, 0, 1, vcc
	v_or_b32_e32 v11, v20, v11
	v_cmp_gt_i32_e32 vcc, 1, v13
	v_cndmask_b32_e32 v11, v17, v11, vcc
	v_or_b32_e32 v14, v21, v14
	v_cmp_gt_i32_e32 vcc, 1, v15
	v_and_b32_e32 v16, 7, v11
	v_cndmask_b32_e32 v14, v19, v14, vcc
	v_cmp_lt_i32_e32 vcc, 5, v16
	v_cmp_eq_u32_e64 s[0:1], 3, v16
	v_lshrrev_b32_e32 v11, 2, v11
	v_and_b32_e32 v17, 7, v14
	s_or_b64 vcc, s[0:1], vcc
	v_cmp_lt_i32_e64 s[2:3], 5, v17
	v_cmp_eq_u32_e64 s[4:5], 3, v17
	v_addc_co_u32_e32 v11, vcc, 0, v11, vcc
	v_lshrrev_b32_e32 v14, 2, v14
	s_or_b64 vcc, s[4:5], s[2:3]
	v_addc_co_u32_e32 v14, vcc, 0, v14, vcc
	v_cmp_gt_i32_e32 vcc, 31, v13
	v_cndmask_b32_e32 v11, v3, v11, vcc
	v_cmp_gt_i32_e32 vcc, 31, v15
	v_lshl_or_b32 v5, v5, 9, v3
	v_cndmask_b32_e32 v14, v3, v14, vcc
	v_cmp_eq_u32_e32 vcc, s18, v13
	v_lshrrev_b32_e32 v12, 16, v12
	v_lshl_or_b32 v7, v7, 9, v3
	v_cndmask_b32_e32 v5, v11, v5, vcc
	v_cmp_eq_u32_e32 vcc, s18, v15
	v_lshrrev_b32_e32 v8, 16, v8
	v_cndmask_b32_e32 v7, v14, v7, vcc
	v_and_or_b32 v5, v12, s17, v5
	v_and_or_b32 v7, v8, s17, v7
	v_and_b32_e32 v5, 0xffff, v5
	v_lshl_or_b32 v5, v7, 16, v5
	global_store_dword v[9:10], v5, off
	global_load_dword v5, v[0:1], off offset:272
	v_lshrrev_b32_e32 v7, 16, v6
	v_mov_b32_e32 v11, s9
	v_add_co_u32_e32 v9, vcc, s8, v9
	v_addc_co_u32_e32 v10, vcc, v10, v11, vcc
	s_waitcnt vmcnt(0)
	v_mul_f16_sdwa v8, v7, v5 dst_sel:DWORD dst_unused:UNUSED_PAD src0_sel:DWORD src1_sel:WORD_1
	v_fma_f16 v8, v6, v5, v8
	v_mul_f16_sdwa v6, v6, v5 dst_sel:DWORD dst_unused:UNUSED_PAD src0_sel:DWORD src1_sel:WORD_1
	v_cvt_f32_f16_e32 v8, v8
	v_fma_f16 v5, v5, v7, -v6
	v_cvt_f32_f16_e32 v7, v5
	v_cvt_f64_f32_e32 v[5:6], v8
	v_cvt_f64_f32_e32 v[7:8], v7
	v_mul_f64 v[5:6], v[5:6], s[14:15]
	v_mul_f64 v[7:8], v[7:8], s[14:15]
	v_and_or_b32 v5, v6, s16, v5
	v_cmp_ne_u32_e32 vcc, 0, v5
	v_and_or_b32 v7, v8, s16, v7
	v_lshrrev_b32_e32 v11, 8, v6
	v_bfe_u32 v12, v6, 20, 11
	v_cndmask_b32_e64 v5, 0, 1, vcc
	v_cmp_ne_u32_e32 vcc, 0, v7
	v_lshrrev_b32_e32 v13, 8, v8
	v_bfe_u32 v14, v8, 20, 11
	v_sub_u32_e32 v15, 0x3f1, v12
	v_cndmask_b32_e64 v7, 0, 1, vcc
	v_and_or_b32 v5, v11, s10, v5
	v_sub_u32_e32 v16, 0x3f1, v14
	v_med3_i32 v11, v15, 0, 13
	v_and_or_b32 v7, v13, s10, v7
	v_or_b32_e32 v15, 0x1000, v5
	v_add_u32_e32 v12, 0xfffffc10, v12
	v_med3_i32 v13, v16, 0, 13
	v_cmp_ne_u32_e32 vcc, 0, v5
	v_or_b32_e32 v17, 0x1000, v7
	v_lshrrev_b32_e32 v19, v11, v15
	v_add_u32_e32 v14, 0xfffffc10, v14
	v_lshl_or_b32 v16, v12, 12, v5
	v_cndmask_b32_e64 v5, 0, 1, vcc
	v_cmp_ne_u32_e32 vcc, 0, v7
	v_lshrrev_b32_e32 v20, v13, v17
	v_lshlrev_b32_e32 v11, v11, v19
	v_lshl_or_b32 v18, v14, 12, v7
	v_cndmask_b32_e64 v7, 0, 1, vcc
	v_lshlrev_b32_e32 v13, v13, v20
	v_cmp_ne_u32_e32 vcc, v11, v15
	v_cndmask_b32_e64 v11, 0, 1, vcc
	v_cmp_ne_u32_e32 vcc, v13, v17
	v_cndmask_b32_e64 v13, 0, 1, vcc
	v_or_b32_e32 v11, v19, v11
	v_cmp_gt_i32_e32 vcc, 1, v12
	v_cndmask_b32_e32 v11, v16, v11, vcc
	v_or_b32_e32 v13, v20, v13
	v_cmp_gt_i32_e32 vcc, 1, v14
	v_and_b32_e32 v15, 7, v11
	v_cndmask_b32_e32 v13, v18, v13, vcc
	v_cmp_lt_i32_e32 vcc, 5, v15
	v_cmp_eq_u32_e64 s[0:1], 3, v15
	v_lshrrev_b32_e32 v11, 2, v11
	v_and_b32_e32 v16, 7, v13
	s_or_b64 vcc, s[0:1], vcc
	v_cmp_lt_i32_e64 s[2:3], 5, v16
	v_cmp_eq_u32_e64 s[4:5], 3, v16
	v_addc_co_u32_e32 v11, vcc, 0, v11, vcc
	v_lshrrev_b32_e32 v13, 2, v13
	s_or_b64 vcc, s[4:5], s[2:3]
	v_addc_co_u32_e32 v13, vcc, 0, v13, vcc
	v_cmp_gt_i32_e32 vcc, 31, v12
	v_cndmask_b32_e32 v11, v3, v11, vcc
	v_cmp_gt_i32_e32 vcc, 31, v14
	v_lshl_or_b32 v5, v5, 9, v3
	v_cndmask_b32_e32 v13, v3, v13, vcc
	v_cmp_eq_u32_e32 vcc, s18, v12
	v_lshrrev_b32_e32 v6, 16, v6
	v_lshl_or_b32 v7, v7, 9, v3
	v_cndmask_b32_e32 v5, v11, v5, vcc
	v_cmp_eq_u32_e32 vcc, s18, v14
	v_lshrrev_b32_e32 v8, 16, v8
	v_cndmask_b32_e32 v7, v13, v7, vcc
	v_and_or_b32 v5, v6, s17, v5
	v_and_or_b32 v6, v8, s17, v7
	v_and_b32_e32 v5, 0xffff, v5
	v_lshl_or_b32 v5, v6, 16, v5
	global_store_dword v[9:10], v5, off
	global_load_dword v6, v[0:1], off offset:636
	ds_read2_b32 v[4:5], v4 offset0:159 offset1:250
	s_waitcnt lgkmcnt(0)
	v_lshrrev_b32_e32 v7, 16, v4
	s_waitcnt vmcnt(0)
	v_mul_f16_sdwa v8, v7, v6 dst_sel:DWORD dst_unused:UNUSED_PAD src0_sel:DWORD src1_sel:WORD_1
	v_fma_f16 v8, v4, v6, v8
	v_mul_f16_sdwa v4, v4, v6 dst_sel:DWORD dst_unused:UNUSED_PAD src0_sel:DWORD src1_sel:WORD_1
	v_cvt_f32_f16_e32 v8, v8
	v_fma_f16 v4, v6, v7, -v4
	v_cvt_f32_f16_e32 v4, v4
	v_cvt_f64_f32_e32 v[6:7], v8
	v_add_co_u32_e32 v8, vcc, s8, v9
	v_cvt_f64_f32_e32 v[11:12], v4
	v_mul_f64 v[6:7], v[6:7], s[14:15]
	v_mov_b32_e32 v4, s9
	v_addc_co_u32_e32 v9, vcc, v10, v4, vcc
	v_mul_f64 v[11:12], v[11:12], s[14:15]
	v_and_or_b32 v4, v7, s16, v6
	v_cmp_ne_u32_e32 vcc, 0, v4
	v_lshrrev_b32_e32 v6, 8, v7
	v_bfe_u32 v10, v7, 20, 11
	v_and_or_b32 v11, v12, s16, v11
	v_cndmask_b32_e64 v4, 0, 1, vcc
	v_cmp_ne_u32_e32 vcc, 0, v11
	v_lshrrev_b32_e32 v13, 8, v12
	v_bfe_u32 v14, v12, 20, 11
	v_sub_u32_e32 v15, 0x3f1, v10
	v_cndmask_b32_e64 v11, 0, 1, vcc
	v_and_or_b32 v4, v6, s10, v4
	v_sub_u32_e32 v16, 0x3f1, v14
	v_med3_i32 v6, v15, 0, 13
	v_and_or_b32 v11, v13, s10, v11
	v_or_b32_e32 v15, 0x1000, v4
	v_add_u32_e32 v10, 0xfffffc10, v10
	v_med3_i32 v13, v16, 0, 13
	v_cmp_ne_u32_e32 vcc, 0, v4
	v_or_b32_e32 v17, 0x1000, v11
	v_lshrrev_b32_e32 v19, v6, v15
	v_add_u32_e32 v14, 0xfffffc10, v14
	v_lshl_or_b32 v16, v10, 12, v4
	v_cndmask_b32_e64 v4, 0, 1, vcc
	v_cmp_ne_u32_e32 vcc, 0, v11
	v_lshrrev_b32_e32 v20, v13, v17
	v_lshlrev_b32_e32 v6, v6, v19
	v_lshl_or_b32 v18, v14, 12, v11
	v_cndmask_b32_e64 v11, 0, 1, vcc
	v_lshlrev_b32_e32 v13, v13, v20
	v_cmp_ne_u32_e32 vcc, v6, v15
	v_cndmask_b32_e64 v6, 0, 1, vcc
	v_cmp_ne_u32_e32 vcc, v13, v17
	v_cndmask_b32_e64 v13, 0, 1, vcc
	v_or_b32_e32 v6, v19, v6
	v_cmp_gt_i32_e32 vcc, 1, v10
	v_cndmask_b32_e32 v6, v16, v6, vcc
	v_or_b32_e32 v13, v20, v13
	v_cmp_gt_i32_e32 vcc, 1, v14
	v_and_b32_e32 v15, 7, v6
	v_cndmask_b32_e32 v13, v18, v13, vcc
	v_cmp_lt_i32_e32 vcc, 5, v15
	v_cmp_eq_u32_e64 s[0:1], 3, v15
	v_lshrrev_b32_e32 v6, 2, v6
	v_and_b32_e32 v16, 7, v13
	s_or_b64 vcc, s[0:1], vcc
	v_cmp_lt_i32_e64 s[2:3], 5, v16
	v_cmp_eq_u32_e64 s[4:5], 3, v16
	v_addc_co_u32_e32 v6, vcc, 0, v6, vcc
	v_lshrrev_b32_e32 v13, 2, v13
	s_or_b64 vcc, s[4:5], s[2:3]
	v_addc_co_u32_e32 v13, vcc, 0, v13, vcc
	v_cmp_gt_i32_e32 vcc, 31, v10
	v_cndmask_b32_e32 v6, v3, v6, vcc
	v_cmp_gt_i32_e32 vcc, 31, v14
	v_lshl_or_b32 v4, v4, 9, v3
	v_cndmask_b32_e32 v13, v3, v13, vcc
	v_cmp_eq_u32_e32 vcc, s18, v10
	v_lshrrev_b32_e32 v7, 16, v7
	v_lshl_or_b32 v11, v11, 9, v3
	v_cndmask_b32_e32 v4, v6, v4, vcc
	v_cmp_eq_u32_e32 vcc, s18, v14
	v_lshrrev_b32_e32 v12, 16, v12
	v_cndmask_b32_e32 v6, v13, v11, vcc
	v_and_or_b32 v4, v7, s17, v4
	v_and_or_b32 v6, v12, s17, v6
	v_and_b32_e32 v4, 0xffff, v4
	v_lshl_or_b32 v4, v6, 16, v4
	global_store_dword v[8:9], v4, off
	global_load_dword v4, v[0:1], off offset:1000
	v_lshrrev_b32_e32 v6, 16, v5
	v_mov_b32_e32 v10, s9
	v_add_co_u32_e32 v8, vcc, s8, v8
	v_addc_co_u32_e32 v9, vcc, v9, v10, vcc
	s_waitcnt vmcnt(0)
	v_mul_f16_sdwa v7, v6, v4 dst_sel:DWORD dst_unused:UNUSED_PAD src0_sel:DWORD src1_sel:WORD_1
	v_fma_f16 v7, v5, v4, v7
	v_mul_f16_sdwa v5, v5, v4 dst_sel:DWORD dst_unused:UNUSED_PAD src0_sel:DWORD src1_sel:WORD_1
	v_cvt_f32_f16_e32 v7, v7
	v_fma_f16 v4, v4, v6, -v5
	v_cvt_f32_f16_e32 v6, v4
	v_cvt_f64_f32_e32 v[4:5], v7
	v_cvt_f64_f32_e32 v[6:7], v6
	v_mul_f64 v[4:5], v[4:5], s[14:15]
	v_mul_f64 v[6:7], v[6:7], s[14:15]
	v_and_or_b32 v4, v5, s16, v4
	v_cmp_ne_u32_e32 vcc, 0, v4
	v_and_or_b32 v6, v7, s16, v6
	v_lshrrev_b32_e32 v10, 8, v5
	v_bfe_u32 v11, v5, 20, 11
	v_cndmask_b32_e64 v4, 0, 1, vcc
	v_cmp_ne_u32_e32 vcc, 0, v6
	v_lshrrev_b32_e32 v12, 8, v7
	v_bfe_u32 v13, v7, 20, 11
	v_sub_u32_e32 v14, 0x3f1, v11
	v_cndmask_b32_e64 v6, 0, 1, vcc
	v_and_or_b32 v4, v10, s10, v4
	v_sub_u32_e32 v15, 0x3f1, v13
	v_med3_i32 v10, v14, 0, 13
	v_and_or_b32 v6, v12, s10, v6
	v_or_b32_e32 v14, 0x1000, v4
	v_add_u32_e32 v11, 0xfffffc10, v11
	v_med3_i32 v12, v15, 0, 13
	v_cmp_ne_u32_e32 vcc, 0, v4
	v_or_b32_e32 v16, 0x1000, v6
	v_lshrrev_b32_e32 v18, v10, v14
	v_add_u32_e32 v13, 0xfffffc10, v13
	v_lshl_or_b32 v15, v11, 12, v4
	v_cndmask_b32_e64 v4, 0, 1, vcc
	v_cmp_ne_u32_e32 vcc, 0, v6
	v_lshrrev_b32_e32 v19, v12, v16
	v_lshlrev_b32_e32 v10, v10, v18
	v_lshl_or_b32 v17, v13, 12, v6
	v_cndmask_b32_e64 v6, 0, 1, vcc
	v_lshlrev_b32_e32 v12, v12, v19
	v_cmp_ne_u32_e32 vcc, v10, v14
	v_cndmask_b32_e64 v10, 0, 1, vcc
	v_cmp_ne_u32_e32 vcc, v12, v16
	v_cndmask_b32_e64 v12, 0, 1, vcc
	v_or_b32_e32 v10, v18, v10
	v_cmp_gt_i32_e32 vcc, 1, v11
	v_cndmask_b32_e32 v10, v15, v10, vcc
	v_or_b32_e32 v12, v19, v12
	v_cmp_gt_i32_e32 vcc, 1, v13
	v_and_b32_e32 v14, 7, v10
	v_cndmask_b32_e32 v12, v17, v12, vcc
	v_cmp_lt_i32_e32 vcc, 5, v14
	v_cmp_eq_u32_e64 s[0:1], 3, v14
	v_lshrrev_b32_e32 v10, 2, v10
	v_and_b32_e32 v15, 7, v12
	s_or_b64 vcc, s[0:1], vcc
	v_cmp_lt_i32_e64 s[2:3], 5, v15
	v_cmp_eq_u32_e64 s[4:5], 3, v15
	v_addc_co_u32_e32 v10, vcc, 0, v10, vcc
	v_lshrrev_b32_e32 v12, 2, v12
	s_or_b64 vcc, s[4:5], s[2:3]
	v_addc_co_u32_e32 v12, vcc, 0, v12, vcc
	v_cmp_gt_i32_e32 vcc, 31, v11
	v_cndmask_b32_e32 v10, v3, v10, vcc
	v_cmp_gt_i32_e32 vcc, 31, v13
	v_lshl_or_b32 v4, v4, 9, v3
	v_cndmask_b32_e32 v12, v3, v12, vcc
	v_cmp_eq_u32_e32 vcc, s18, v11
	v_lshrrev_b32_e32 v5, 16, v5
	v_lshl_or_b32 v6, v6, 9, v3
	v_cndmask_b32_e32 v4, v10, v4, vcc
	v_cmp_eq_u32_e32 vcc, s18, v13
	v_lshrrev_b32_e32 v7, 16, v7
	v_cndmask_b32_e32 v6, v12, v6, vcc
	v_and_or_b32 v4, v5, s17, v4
	v_and_or_b32 v5, v7, s17, v6
	v_and_b32_e32 v4, 0xffff, v4
	v_lshl_or_b32 v4, v5, 16, v4
	global_store_dword v[8:9], v4, off
	global_load_dword v6, v[0:1], off offset:1364
	ds_read2_b32 v[4:5], v2 offset0:85 offset1:176
	v_add_co_u32_e32 v8, vcc, s8, v8
	s_waitcnt lgkmcnt(0)
	v_lshrrev_b32_e32 v2, 16, v4
	s_waitcnt vmcnt(0)
	v_mul_f16_sdwa v7, v2, v6 dst_sel:DWORD dst_unused:UNUSED_PAD src0_sel:DWORD src1_sel:WORD_1
	v_fma_f16 v7, v4, v6, v7
	v_mul_f16_sdwa v4, v4, v6 dst_sel:DWORD dst_unused:UNUSED_PAD src0_sel:DWORD src1_sel:WORD_1
	v_cvt_f32_f16_e32 v7, v7
	v_fma_f16 v2, v6, v2, -v4
	v_cvt_f32_f16_e32 v2, v2
	v_cvt_f64_f32_e32 v[6:7], v7
	v_cvt_f64_f32_e32 v[10:11], v2
	v_mov_b32_e32 v2, s9
	v_mul_f64 v[6:7], v[6:7], s[14:15]
	v_addc_co_u32_e32 v9, vcc, v9, v2, vcc
	v_mul_f64 v[10:11], v[10:11], s[14:15]
	v_and_or_b32 v2, v7, s16, v6
	v_cmp_ne_u32_e32 vcc, 0, v2
	v_lshrrev_b32_e32 v4, 8, v7
	v_and_or_b32 v10, v11, s16, v10
	v_bfe_u32 v6, v7, 20, 11
	v_cndmask_b32_e64 v2, 0, 1, vcc
	v_cmp_ne_u32_e32 vcc, 0, v10
	v_lshrrev_b32_e32 v12, 8, v11
	v_bfe_u32 v13, v11, 20, 11
	v_sub_u32_e32 v14, 0x3f1, v6
	v_cndmask_b32_e64 v10, 0, 1, vcc
	v_and_or_b32 v2, v4, s10, v2
	v_sub_u32_e32 v15, 0x3f1, v13
	v_med3_i32 v4, v14, 0, 13
	v_and_or_b32 v10, v12, s10, v10
	v_or_b32_e32 v14, 0x1000, v2
	v_add_u32_e32 v6, 0xfffffc10, v6
	v_med3_i32 v12, v15, 0, 13
	v_cmp_ne_u32_e32 vcc, 0, v2
	v_or_b32_e32 v16, 0x1000, v10
	v_lshrrev_b32_e32 v18, v4, v14
	v_add_u32_e32 v13, 0xfffffc10, v13
	v_lshl_or_b32 v15, v6, 12, v2
	v_cndmask_b32_e64 v2, 0, 1, vcc
	v_cmp_ne_u32_e32 vcc, 0, v10
	v_lshrrev_b32_e32 v19, v12, v16
	v_lshlrev_b32_e32 v4, v4, v18
	v_lshl_or_b32 v17, v13, 12, v10
	v_cndmask_b32_e64 v10, 0, 1, vcc
	v_lshlrev_b32_e32 v12, v12, v19
	v_cmp_ne_u32_e32 vcc, v4, v14
	v_cndmask_b32_e64 v4, 0, 1, vcc
	v_cmp_ne_u32_e32 vcc, v12, v16
	v_cndmask_b32_e64 v12, 0, 1, vcc
	v_or_b32_e32 v4, v18, v4
	v_cmp_gt_i32_e32 vcc, 1, v6
	v_cndmask_b32_e32 v4, v15, v4, vcc
	v_or_b32_e32 v12, v19, v12
	v_cmp_gt_i32_e32 vcc, 1, v13
	v_and_b32_e32 v14, 7, v4
	v_cndmask_b32_e32 v12, v17, v12, vcc
	v_cmp_lt_i32_e32 vcc, 5, v14
	v_cmp_eq_u32_e64 s[0:1], 3, v14
	v_lshrrev_b32_e32 v4, 2, v4
	v_and_b32_e32 v15, 7, v12
	s_or_b64 vcc, s[0:1], vcc
	v_cmp_lt_i32_e64 s[2:3], 5, v15
	v_cmp_eq_u32_e64 s[4:5], 3, v15
	v_addc_co_u32_e32 v4, vcc, 0, v4, vcc
	v_lshrrev_b32_e32 v12, 2, v12
	s_or_b64 vcc, s[4:5], s[2:3]
	v_addc_co_u32_e32 v12, vcc, 0, v12, vcc
	v_cmp_gt_i32_e32 vcc, 31, v6
	v_cndmask_b32_e32 v4, v3, v4, vcc
	v_cmp_gt_i32_e32 vcc, 31, v13
	v_lshl_or_b32 v2, v2, 9, v3
	v_cndmask_b32_e32 v12, v3, v12, vcc
	v_cmp_eq_u32_e32 vcc, s18, v6
	v_lshrrev_b32_e32 v7, 16, v7
	v_lshl_or_b32 v10, v10, 9, v3
	v_cndmask_b32_e32 v2, v4, v2, vcc
	v_cmp_eq_u32_e32 vcc, s18, v13
	v_lshrrev_b32_e32 v11, 16, v11
	v_cndmask_b32_e32 v4, v12, v10, vcc
	v_and_or_b32 v2, v7, s17, v2
	v_and_or_b32 v4, v11, s17, v4
	v_and_b32_e32 v2, 0xffff, v2
	v_lshl_or_b32 v2, v4, 16, v2
	global_store_dword v[8:9], v2, off
	global_load_dword v0, v[0:1], off offset:1728
	v_lshrrev_b32_e32 v1, 16, v5
	s_waitcnt vmcnt(0)
	v_mul_f16_sdwa v2, v1, v0 dst_sel:DWORD dst_unused:UNUSED_PAD src0_sel:DWORD src1_sel:WORD_1
	v_fma_f16 v2, v5, v0, v2
	v_mul_f16_sdwa v4, v5, v0 dst_sel:DWORD dst_unused:UNUSED_PAD src0_sel:DWORD src1_sel:WORD_1
	v_cvt_f32_f16_e32 v2, v2
	v_fma_f16 v0, v0, v1, -v4
	v_cvt_f32_f16_e32 v4, v0
	v_cvt_f64_f32_e32 v[0:1], v2
	v_mov_b32_e32 v2, s9
	v_cvt_f64_f32_e32 v[4:5], v4
	v_mul_f64 v[0:1], v[0:1], s[14:15]
	v_mul_f64 v[4:5], v[4:5], s[14:15]
	v_and_or_b32 v0, v1, s16, v0
	v_cmp_ne_u32_e32 vcc, 0, v0
	v_and_or_b32 v4, v5, s16, v4
	v_lshrrev_b32_e32 v6, 8, v1
	v_bfe_u32 v7, v1, 20, 11
	v_cndmask_b32_e64 v0, 0, 1, vcc
	v_cmp_ne_u32_e32 vcc, 0, v4
	v_lshrrev_b32_e32 v10, 8, v5
	v_bfe_u32 v11, v5, 20, 11
	v_sub_u32_e32 v12, 0x3f1, v7
	v_cndmask_b32_e64 v4, 0, 1, vcc
	v_and_or_b32 v0, v6, s10, v0
	v_sub_u32_e32 v13, 0x3f1, v11
	v_med3_i32 v6, v12, 0, 13
	v_and_or_b32 v4, v10, s10, v4
	v_or_b32_e32 v12, 0x1000, v0
	v_add_u32_e32 v7, 0xfffffc10, v7
	v_med3_i32 v10, v13, 0, 13
	v_cmp_ne_u32_e32 vcc, 0, v0
	v_or_b32_e32 v14, 0x1000, v4
	v_lshrrev_b32_e32 v16, v6, v12
	v_add_u32_e32 v11, 0xfffffc10, v11
	v_lshl_or_b32 v13, v7, 12, v0
	v_cndmask_b32_e64 v0, 0, 1, vcc
	v_cmp_ne_u32_e32 vcc, 0, v4
	v_lshrrev_b32_e32 v17, v10, v14
	v_lshlrev_b32_e32 v6, v6, v16
	v_lshl_or_b32 v15, v11, 12, v4
	v_cndmask_b32_e64 v4, 0, 1, vcc
	v_lshlrev_b32_e32 v10, v10, v17
	v_cmp_ne_u32_e32 vcc, v6, v12
	v_cndmask_b32_e64 v6, 0, 1, vcc
	v_cmp_ne_u32_e32 vcc, v10, v14
	v_cndmask_b32_e64 v10, 0, 1, vcc
	v_or_b32_e32 v6, v16, v6
	v_cmp_gt_i32_e32 vcc, 1, v7
	v_cndmask_b32_e32 v6, v13, v6, vcc
	v_or_b32_e32 v10, v17, v10
	v_cmp_gt_i32_e32 vcc, 1, v11
	v_and_b32_e32 v12, 7, v6
	v_cndmask_b32_e32 v10, v15, v10, vcc
	v_cmp_lt_i32_e32 vcc, 5, v12
	v_cmp_eq_u32_e64 s[0:1], 3, v12
	v_lshrrev_b32_e32 v6, 2, v6
	v_and_b32_e32 v13, 7, v10
	s_or_b64 vcc, s[0:1], vcc
	v_cmp_lt_i32_e64 s[2:3], 5, v13
	v_cmp_eq_u32_e64 s[4:5], 3, v13
	v_addc_co_u32_e32 v6, vcc, 0, v6, vcc
	v_lshrrev_b32_e32 v10, 2, v10
	s_or_b64 vcc, s[4:5], s[2:3]
	v_addc_co_u32_e32 v10, vcc, 0, v10, vcc
	v_cmp_gt_i32_e32 vcc, 31, v7
	v_cndmask_b32_e32 v6, v3, v6, vcc
	v_cmp_gt_i32_e32 vcc, 31, v11
	v_lshl_or_b32 v0, v0, 9, v3
	v_lshl_or_b32 v4, v4, 9, v3
	v_cndmask_b32_e32 v3, v3, v10, vcc
	v_cmp_eq_u32_e32 vcc, s18, v7
	v_lshrrev_b32_e32 v1, 16, v1
	v_cndmask_b32_e32 v0, v6, v0, vcc
	v_cmp_eq_u32_e32 vcc, s18, v11
	v_lshrrev_b32_e32 v5, 16, v5
	v_cndmask_b32_e32 v3, v3, v4, vcc
	v_and_or_b32 v0, v1, s17, v0
	v_and_or_b32 v1, v5, s17, v3
	v_and_b32_e32 v0, 0xffff, v0
	v_lshl_or_b32 v3, v1, 16, v0
	v_add_co_u32_e32 v0, vcc, s8, v8
	v_addc_co_u32_e32 v1, vcc, v9, v2, vcc
	global_store_dword v[0:1], v3, off
.LBB0_23:
	s_endpgm
	.section	.rodata,"a",@progbits
	.p2align	6, 0x0
	.amdhsa_kernel bluestein_single_back_len1547_dim1_half_op_CI_CI
		.amdhsa_group_segment_fixed_size 6188
		.amdhsa_private_segment_fixed_size 0
		.amdhsa_kernarg_size 104
		.amdhsa_user_sgpr_count 6
		.amdhsa_user_sgpr_private_segment_buffer 1
		.amdhsa_user_sgpr_dispatch_ptr 0
		.amdhsa_user_sgpr_queue_ptr 0
		.amdhsa_user_sgpr_kernarg_segment_ptr 1
		.amdhsa_user_sgpr_dispatch_id 0
		.amdhsa_user_sgpr_flat_scratch_init 0
		.amdhsa_user_sgpr_private_segment_size 0
		.amdhsa_uses_dynamic_stack 0
		.amdhsa_system_sgpr_private_segment_wavefront_offset 0
		.amdhsa_system_sgpr_workgroup_id_x 1
		.amdhsa_system_sgpr_workgroup_id_y 0
		.amdhsa_system_sgpr_workgroup_id_z 0
		.amdhsa_system_sgpr_workgroup_info 0
		.amdhsa_system_vgpr_workitem_id 0
		.amdhsa_next_free_vgpr 249
		.amdhsa_next_free_sgpr 39
		.amdhsa_reserve_vcc 1
		.amdhsa_reserve_flat_scratch 0
		.amdhsa_float_round_mode_32 0
		.amdhsa_float_round_mode_16_64 0
		.amdhsa_float_denorm_mode_32 3
		.amdhsa_float_denorm_mode_16_64 3
		.amdhsa_dx10_clamp 1
		.amdhsa_ieee_mode 1
		.amdhsa_fp16_overflow 0
		.amdhsa_exception_fp_ieee_invalid_op 0
		.amdhsa_exception_fp_denorm_src 0
		.amdhsa_exception_fp_ieee_div_zero 0
		.amdhsa_exception_fp_ieee_overflow 0
		.amdhsa_exception_fp_ieee_underflow 0
		.amdhsa_exception_fp_ieee_inexact 0
		.amdhsa_exception_int_div_zero 0
	.end_amdhsa_kernel
	.text
.Lfunc_end0:
	.size	bluestein_single_back_len1547_dim1_half_op_CI_CI, .Lfunc_end0-bluestein_single_back_len1547_dim1_half_op_CI_CI
                                        ; -- End function
	.section	.AMDGPU.csdata,"",@progbits
; Kernel info:
; codeLenInByte = 32588
; NumSgprs: 43
; NumVgprs: 249
; ScratchSize: 0
; MemoryBound: 0
; FloatMode: 240
; IeeeMode: 1
; LDSByteSize: 6188 bytes/workgroup (compile time only)
; SGPRBlocks: 5
; VGPRBlocks: 62
; NumSGPRsForWavesPerEU: 43
; NumVGPRsForWavesPerEU: 249
; Occupancy: 1
; WaveLimiterHint : 1
; COMPUTE_PGM_RSRC2:SCRATCH_EN: 0
; COMPUTE_PGM_RSRC2:USER_SGPR: 6
; COMPUTE_PGM_RSRC2:TRAP_HANDLER: 0
; COMPUTE_PGM_RSRC2:TGID_X_EN: 1
; COMPUTE_PGM_RSRC2:TGID_Y_EN: 0
; COMPUTE_PGM_RSRC2:TGID_Z_EN: 0
; COMPUTE_PGM_RSRC2:TIDIG_COMP_CNT: 0
	.type	__hip_cuid_9cd5f9939c33de13,@object ; @__hip_cuid_9cd5f9939c33de13
	.section	.bss,"aw",@nobits
	.globl	__hip_cuid_9cd5f9939c33de13
__hip_cuid_9cd5f9939c33de13:
	.byte	0                               ; 0x0
	.size	__hip_cuid_9cd5f9939c33de13, 1

	.ident	"AMD clang version 19.0.0git (https://github.com/RadeonOpenCompute/llvm-project roc-6.4.0 25133 c7fe45cf4b819c5991fe208aaa96edf142730f1d)"
	.section	".note.GNU-stack","",@progbits
	.addrsig
	.addrsig_sym __hip_cuid_9cd5f9939c33de13
	.amdgpu_metadata
---
amdhsa.kernels:
  - .args:
      - .actual_access:  read_only
        .address_space:  global
        .offset:         0
        .size:           8
        .value_kind:     global_buffer
      - .actual_access:  read_only
        .address_space:  global
        .offset:         8
        .size:           8
        .value_kind:     global_buffer
      - .actual_access:  read_only
        .address_space:  global
        .offset:         16
        .size:           8
        .value_kind:     global_buffer
      - .actual_access:  read_only
        .address_space:  global
        .offset:         24
        .size:           8
        .value_kind:     global_buffer
      - .actual_access:  read_only
        .address_space:  global
        .offset:         32
        .size:           8
        .value_kind:     global_buffer
      - .offset:         40
        .size:           8
        .value_kind:     by_value
      - .address_space:  global
        .offset:         48
        .size:           8
        .value_kind:     global_buffer
      - .address_space:  global
        .offset:         56
        .size:           8
        .value_kind:     global_buffer
      - .address_space:  global
        .offset:         64
        .size:           8
        .value_kind:     global_buffer
      - .address_space:  global
        .offset:         72
        .size:           8
        .value_kind:     global_buffer
      - .offset:         80
        .size:           4
        .value_kind:     by_value
      - .address_space:  global
        .offset:         88
        .size:           8
        .value_kind:     global_buffer
      - .address_space:  global
        .offset:         96
        .size:           8
        .value_kind:     global_buffer
    .group_segment_fixed_size: 6188
    .kernarg_segment_align: 8
    .kernarg_segment_size: 104
    .language:       OpenCL C
    .language_version:
      - 2
      - 0
    .max_flat_workgroup_size: 119
    .name:           bluestein_single_back_len1547_dim1_half_op_CI_CI
    .private_segment_fixed_size: 0
    .sgpr_count:     43
    .sgpr_spill_count: 0
    .symbol:         bluestein_single_back_len1547_dim1_half_op_CI_CI.kd
    .uniform_work_group_size: 1
    .uses_dynamic_stack: false
    .vgpr_count:     249
    .vgpr_spill_count: 0
    .wavefront_size: 64
amdhsa.target:   amdgcn-amd-amdhsa--gfx906
amdhsa.version:
  - 1
  - 2
...

	.end_amdgpu_metadata
